;; amdgpu-corpus repo=ROCm/rccl kind=compiled arch=gfx90a opt=O3
	.text
	.amdgcn_target "amdgcn-amd-amdhsa--gfx90a"
	.amdhsa_code_object_version 6
	.p2align	2                               ; -- Begin function _ZN12_GLOBAL__N_17runRingI14__hip_fp8_e5m28FuncProdIS1_E7ProtoLLLi0ELi1ELi0EEEviiP15ncclDevWorkColl
	.type	_ZN12_GLOBAL__N_17runRingI14__hip_fp8_e5m28FuncProdIS1_E7ProtoLLLi0ELi1ELi0EEEviiP15ncclDevWorkColl,@function
_ZN12_GLOBAL__N_17runRingI14__hip_fp8_e5m28FuncProdIS1_E7ProtoLLLi0ELi1ELi0EEEviiP15ncclDevWorkColl: ; @_ZN12_GLOBAL__N_17runRingI14__hip_fp8_e5m28FuncProdIS1_E7ProtoLLLi0ELi1ELi0EEEviiP15ncclDevWorkColl
; %bb.0:
	s_waitcnt vmcnt(0) expcnt(0) lgkmcnt(0)
	s_or_saveexec_b64 s[4:5], -1
	buffer_store_dword v63, off, s[0:3], s32 offset:128 ; 4-byte Folded Spill
	s_mov_b64 exec, s[4:5]
	buffer_store_dword v40, off, s[0:3], s32 offset:124 ; 4-byte Folded Spill
	buffer_store_dword v41, off, s[0:3], s32 offset:120 ; 4-byte Folded Spill
	;; [unrolled: 1-line block ×31, first 2 shown]
	buffer_store_dword a49, off, s[0:3], s32 ; 4-byte Folded Spill
	v_writelane_b32 v63, s34, 0
	v_writelane_b32 v63, s35, 1
	;; [unrolled: 1-line block ×45, first 2 shown]
	s_trap 2
	flat_load_dword v7, v[2:3]
	flat_load_dwordx4 v[48:51], v[2:3] offset:72
	flat_load_dwordx2 v[10:11], v[2:3] offset:88
	ds_read_b32 v5, v0
	ds_read_b64 a[6:7], v0
	v_mov_b32_e32 v20, v1
                                        ; implicit-def: $vgpr26_vgpr27
                                        ; implicit-def: $agpr8_agpr9
	s_waitcnt lgkmcnt(0)
	v_readfirstlane_b32 s20, v5
	s_waitcnt vmcnt(0)
	v_not_b32_sdwa v6, v7 dst_sel:DWORD dst_unused:UNUSED_PAD src0_sel:BYTE_0
	v_add_u32_sdwa v4, v7, v6 dst_sel:DWORD dst_unused:UNUSED_PAD src0_sel:BYTE_1 src1_sel:DWORD
	v_ashrrev_i32_e32 v8, 31, v4
	v_mul_lo_u32 v9, v51, v4
	v_mad_u64_u32 v[18:19], s[4:5], v50, v4, 0
	v_mul_lo_u32 v4, v50, v8
	v_add3_u32 v4, v19, v4, v9
	v_cmp_ne_u32_sdwa s[4:5], v7, v5 src0_sel:BYTE_0 src1_sel:DWORD
	s_and_saveexec_b64 s[6:7], s[4:5]
	s_xor_b64 s[4:5], exec, s[6:7]
	s_cbranch_execz .LBB0_6
; %bb.1:
	v_cmp_ne_u32_sdwa s[6:7], v7, v5 src0_sel:BYTE_1 src1_sel:DWORD
                                        ; implicit-def: $vgpr26_vgpr27
                                        ; implicit-def: $agpr8_agpr9
	s_and_saveexec_b64 s[10:11], s[6:7]
	s_xor_b64 s[6:7], exec, s[10:11]
	s_cbranch_execz .LBB0_3
; %bb.2:
	flat_load_dwordx2 v[8:9], v[2:3] offset:96
	v_add_u32_e32 v5, v5, v6
	v_ashrrev_i32_e32 v6, 31, v5
	v_mul_lo_u32 v6, v50, v6
	v_mul_lo_u32 v7, v51, v5
	v_mad_u64_u32 v[12:13], s[10:11], v50, v5, v[48:49]
	v_add3_u32 v13, v7, v13, v6
	v_accvgpr_write_b32 a8, v12
	v_accvgpr_write_b32 a9, v13
	s_waitcnt vmcnt(0) lgkmcnt(0)
	v_lshrrev_b64 v[26:27], 17, v[8:9]
.LBB0_3:
	s_andn2_saveexec_b64 s[6:7], s[6:7]
	s_cbranch_execz .LBB0_5
; %bb.4:
	flat_load_dword v5, v[2:3] offset:100
	v_add_co_u32_e32 v6, vcc, v18, v48
	v_addc_co_u32_e32 v7, vcc, v4, v49, vcc
	v_accvgpr_write_b32 a9, v7
	v_accvgpr_write_b32 a8, v6
	v_pk_mov_b32 v[50:51], v[10:11], v[10:11] op_sel:[0,1]
	s_waitcnt vmcnt(0) lgkmcnt(0)
	v_lshrrev_b32_e32 v26, 6, v5
.LBB0_5:
	s_or_b64 exec, exec, s[6:7]
.LBB0_6:
	s_andn2_saveexec_b64 s[4:5], s[4:5]
	s_cbranch_execz .LBB0_8
; %bb.7:
	flat_load_dwordx2 v[6:7], v[2:3] offset:96
	v_pk_mov_b32 v[8:9], 0, 0
	v_accvgpr_write_b32 a8, v8
	v_accvgpr_write_b32 a9, v9
	v_pk_mov_b32 v[50:51], v[48:49], v[48:49] op_sel:[0,1]
	s_waitcnt vmcnt(0) lgkmcnt(0)
	v_lshlrev_b64 v[26:27], 4, v[6:7]
.LBB0_8:
	s_or_b64 exec, exec, s[4:5]
	flat_load_ushort v7, v[2:3] offset:8
	flat_load_dword v6, v[2:3] offset:4
	s_load_dword s4, s[8:9], 0x0
	flat_load_dwordx4 a[10:13], v[2:3] offset:16
	v_mov_b32_e32 v3, 0
	v_ashrrev_i32_e32 v1, 31, v0
	v_lshrrev_b32_e32 v2, 26, v1
	s_waitcnt lgkmcnt(0)
	s_cmp_lt_u32 s12, s4
	s_cselect_b32 s4, 12, 18
	s_add_u32 s4, s8, s4
	s_addc_u32 s5, s9, 0
	global_load_ushort v16, v3, s[4:5]
	v_add_u32_e32 v5, v0, v2
	s_trap 2
	ds_read_b32 v2, v0
	v_and_b32_e32 v5, 0xffffffc0, v5
	v_accvgpr_write_b32 a3, v1
	v_sub_u32_e32 v5, v0, v5
	v_accvgpr_write_b32 a2, v0
	s_waitcnt lgkmcnt(0)
	v_cmp_gt_i32_e32 vcc, 0, v2
	s_mov_b32 s6, 0
	v_readfirstlane_b32 s8, v2
	s_and_b64 vcc, exec, vcc
	v_pk_mov_b32 v[22:23], 0, 0
	v_cmp_eq_u32_e64 s[4:5], 0, v5
	s_waitcnt vmcnt(0)
	v_lshrrev_b64 v[6:7], 31, v[6:7]
	v_and_b32_e32 v6, 3, v6
	s_cbranch_vccnz .LBB0_10
; %bb.9:
	s_trap 2
	ds_read_b64 v[8:9], v0
	v_lshlrev_b64 v[2:3], 3, v[2:3]
	v_and_b32_e32 v7, 0xffff, v6
	s_movk_i32 s6, 0xa8
	s_waitcnt lgkmcnt(0)
	v_add_co_u32_e32 v2, vcc, v8, v2
	v_addc_co_u32_e32 v3, vcc, v9, v3, vcc
	flat_load_dwordx2 v[2:3], v[2:3]
	s_waitcnt vmcnt(0) lgkmcnt(0)
	v_mad_u64_u32 v[2:3], s[6:7], v7, s6, v[2:3]
	flat_load_dwordx2 a[18:19], v[2:3] offset:504
	flat_load_dwordx2 v[34:35], v[2:3] offset:608
	v_add_co_u32_e32 v2, vcc, 0x1f8, v2
	v_addc_co_u32_e32 v3, vcc, 0, v3, vcc
	v_cndmask_b32_e64 v25, 0, v3, s[4:5]
	v_cndmask_b32_e64 v24, 0, v2, s[4:5]
	s_mov_b32 s6, 1
	s_branch .LBB0_11
.LBB0_10:
	v_pk_mov_b32 v[24:25], v[22:23], v[22:23] op_sel:[0,1]
                                        ; implicit-def: $vgpr34_vgpr35
                                        ; implicit-def: $agpr18_agpr19
.LBB0_11:
	s_trap 2
	ds_read_b32 v2, v0
	s_waitcnt lgkmcnt(0)
	v_cmp_gt_i32_e32 vcc, 0, v2
	s_cbranch_vccnz .LBB0_13
; %bb.12:
	s_trap 2
	ds_read_b64 v[8:9], v0
	v_mov_b32_e32 v3, 0
	v_lshlrev_b64 v[2:3], 3, v[2:3]
	v_and_b32_e32 v6, 0xffff, v6
	s_movk_i32 s4, 0xa8
	s_waitcnt lgkmcnt(0)
	v_add_co_u32_e32 v2, vcc, v8, v2
	v_addc_co_u32_e32 v3, vcc, v9, v3, vcc
	flat_load_dwordx2 v[2:3], v[2:3]
	v_cmp_eq_u32_e32 vcc, 0, v5
	s_waitcnt vmcnt(0) lgkmcnt(0)
	v_mad_u64_u32 v[2:3], s[4:5], v6, s4, v[2:3]
	flat_load_dwordx2 a[20:21], v[2:3]
	flat_load_dwordx2 v[28:29], v[2:3] offset:104
	v_cndmask_b32_e32 v23, 0, v3, vcc
	v_cndmask_b32_e32 v22, 0, v2, vcc
	s_branch .LBB0_14
.LBB0_13:
                                        ; implicit-def: $vgpr28_vgpr29
                                        ; implicit-def: $agpr20_agpr21
.LBB0_14:
	v_subrev_u32_e32 v2, 64, v20
	v_accvgpr_read_b32 v0, a2
	v_pk_mov_b32 v[12:13], 0, 0
	v_cmp_le_i32_e32 vcc, v2, v0
	v_cmp_gt_i32_e64 s[4:5], s6, v5
	v_accvgpr_write_b32 a23, v13
	s_and_b64 s[22:23], vcc, s[4:5]
	v_accvgpr_write_b32 a22, v12
	v_accvgpr_read_b32 v1, a3
                                        ; implicit-def: $vgpr38_vgpr39
	s_and_saveexec_b64 s[4:5], s[22:23]
	s_cbranch_execz .LBB0_16
; %bb.15:
	flat_load_dwordx2 a[22:23], v[24:25] offset:56
	flat_load_dwordx2 v[38:39], v[24:25] offset:104
.LBB0_16:
	s_or_b64 exec, exec, s[4:5]
	v_accvgpr_read_b32 v0, a2
	v_cmp_gt_i32_e64 s[4:5], s6, v0
	v_pk_mov_b32 v[32:33], v[12:13], v[12:13] op_sel:[0,1]
	v_accvgpr_read_b32 v1, a3
                                        ; implicit-def: $vgpr52_vgpr53
	s_and_saveexec_b64 s[6:7], s[4:5]
	s_cbranch_execz .LBB0_18
; %bb.17:
	flat_load_dwordx2 v[32:33], v[22:23] offset:56
	s_waitcnt vmcnt(0) lgkmcnt(0)
	flat_load_dwordx2 v[52:53], v[32:33] glc
	s_waitcnt vmcnt(0)
	flat_load_dwordx4 v[12:15], v[22:23] offset:96
.LBB0_18:
	s_or_b64 exec, exec, s[6:7]
	v_cmp_ne_u64_e32 vcc, 0, v[50:51]
	v_pk_mov_b32 v[42:43], 0, 0
	s_and_saveexec_b64 s[24:25], vcc
	s_cbranch_execz .LBB0_660
; %bb.19:
	v_add_co_u32_e32 v0, vcc, v10, v48
	v_mov_b32_e32 v41, 0
	s_ashr_i32 s6, s8, 31
	v_addc_co_u32_e32 v1, vcc, v11, v49, vcc
	v_and_b32_e32 v2, 0x1fffff0, v26
	v_mov_b32_e32 v3, v41
	s_lshr_b32 s6, s6, 29
	v_add_co_u32_e32 v0, vcc, v0, v18
	s_ashr_i32 s21, s20, 31
	s_add_i32 s8, s8, s6
	v_pk_mov_b32 v[36:37], v[2:3], v[2:3] op_sel:[0,1]
	v_accvgpr_write_b32 a26, v0
	v_addc_co_u32_e32 v0, vcc, v1, v4, vcc
	s_lshl_b64 s[6:7], s[20:21], 2
	v_accvgpr_read_b32 v2, a6
	v_accvgpr_write_b32 a27, v0
	v_mov_b32_e32 v0, s7
	v_accvgpr_read_b32 v3, a7
	v_add_co_u32_e32 v1, vcc, s6, v2
	v_addc_co_u32_e32 v0, vcc, v3, v0, vcc
	v_add_co_u32_e32 v2, vcc, -4, v1
	v_addc_co_u32_e32 v3, vcc, -1, v0, vcc
	v_and_b32_e32 v0, 63, v31
	v_ashrrev_i32_e32 v21, 31, v20
	v_cmp_eq_u32_e64 s[12:13], 0, v0
	v_lshrrev_b32_e32 v0, 26, v21
	v_accvgpr_write_b32 a29, v3
	v_add_u32_e32 v0, v20, v0
	v_accvgpr_write_b32 a28, v2
	v_ashrrev_i32_e32 v8, 6, v0
	v_accvgpr_read_b32 v0, a2
	v_accvgpr_read_b32 v2, a10
	v_lshlrev_b32_e32 v6, 3, v0
	v_accvgpr_read_b32 v4, a12
	v_ashrrev_i32_e32 v7, 31, v6
	v_accvgpr_read_b32 v5, a13
	v_add_co_u32_e32 v9, vcc, v4, v6
	v_addc_co_u32_e32 v10, vcc, v5, v7, vcc
	v_accvgpr_read_b32 v3, a11
	v_add_co_u32_e32 v2, vcc, v2, v6
	v_accvgpr_write_b32 a34, v2
	v_addc_co_u32_e32 v2, vcc, v3, v7, vcc
	v_accvgpr_write_b32 a35, v2
	v_accvgpr_read_b32 v2, a8
	v_accvgpr_read_b32 v1, a3
	v_accvgpr_read_b32 v3, a9
	v_add_co_u32_e32 v48, vcc, v9, v2
	s_ashr_i32 s10, s8, 3
	v_addc_co_u32_e32 v49, vcc, v10, v3, vcc
	v_lshlrev_b64 v[0:1], 4, v[0:1]
	s_waitcnt vmcnt(0) lgkmcnt(0)
	v_accvgpr_read_b32 v2, a20
	s_ashr_i32 s60, s8, 7
	s_and_b32 s21, s10, -16
	v_accvgpr_read_b32 v4, a22
	v_accvgpr_read_b32 v3, a21
	v_add_co_u32_e32 v0, vcc, v2, v0
	v_accvgpr_write_b32 a16, v24
	v_accvgpr_write_b32 a14, v22
	s_cmp_gt_i32 s20, 2
	v_accvgpr_read_b32 v5, a23
	v_accvgpr_write_b32 a31, v9
	v_accvgpr_write_b32 a39, v0
	v_addc_co_u32_e32 v0, vcc, v3, v1, vcc
	s_mov_b32 s36, -1
	v_accvgpr_write_b32 a30, v8
	v_ashrrev_i32_e32 v1, 31, v8
	v_lshlrev_b32_e32 v56, 3, v20
	v_pk_mov_b32 v[8:9], 0, 0
	v_accvgpr_write_b32 a4, v50
	v_accvgpr_write_b32 a10, v32
	v_accvgpr_write_b32 a24, v36
	v_accvgpr_write_b32 a17, v25
	v_accvgpr_write_b32 a15, v23
	s_mov_b64 s[26:27], 0
	v_cmp_ne_u64_e64 s[6:7], 0, v[32:33]
	v_cmp_ne_u64_e64 s[8:9], 0, v[12:13]
	v_cmp_ne_u32_e64 s[10:11], 64, v20
	v_accvgpr_write_b32 a1, v16
	v_cmp_ne_u32_sdwa s[28:29], v16, v20 src0_sel:WORD_0 src1_sel:DWORD
	v_accvgpr_write_b32 a0, v31
	s_cselect_b64 s[30:31], -1, 0
	v_cmp_ne_u64_e64 s[14:15], 0, v[4:5]
	v_accvgpr_write_b32 a32, v6
	v_accvgpr_write_b32 a3, v7
	;; [unrolled: 1-line block ×3, first 2 shown]
	v_lshlrev_b32_e32 v45, 6, v20
	v_accvgpr_write_b32 a40, v0
	s_movk_i32 s61, 0x2710
	s_mov_b64 s[34:35], 0x7ffffff8
	s_movk_i32 s62, 0xff
	s_movk_i32 s63, 0xff80
	;; [unrolled: 1-line block ×3, first 2 shown]
	s_brev_b32 s65, 1
	s_mov_b32 s37, 0xffffff
	s_movk_i32 s66, 0x80
	s_mov_b64 s[38:39], 0x7f800000
	s_mov_b64 s[40:41], 0x47600001
	s_movk_i32 s67, 0x72
	s_mov_b64 s[42:43], 0xffffff
	s_movk_i32 s68, 0x7f
	s_mov_b32 s69, 0x7c0000
	s_brev_b32 s70, 62
	s_mov_b32 s71, 0xc0c0500
	s_mov_b32 s72, 0x6050400
	s_mov_b32 s73, 0x5040c00
	s_mov_b32 s74, 0xff00
	v_bfrev_b32_e32 v25, 28
	v_mov_b32_e32 v30, -1
	v_mov_b32_e32 v47, 0xc7600000
	v_mov_b32_e32 v6, 0x47600000
	;; [unrolled: 1-line block ×6, first 2 shown]
	v_accvgpr_write_b32 a41, v1
	v_ashrrev_i32_e32 v57, 31, v56
	v_lshlrev_b64 v[58:59], 4, v[20:21]
	v_pk_mov_b32 v[42:43], v[8:9], v[8:9] op_sel:[0,1]
	v_accvgpr_write_b32 a5, v51
	v_accvgpr_write_b32 a11, v33
	;; [unrolled: 1-line block ×3, first 2 shown]
	v_pk_mov_b32 v[16:17], v[28:29], v[28:29] op_sel:[0,1]
	s_branch .LBB0_21
.LBB0_20:                               ;   in Loop: Header=BB0_21 Depth=1
	s_or_b64 exec, exec, s[16:17]
	v_add_co_u32_e32 v34, vcc, 1, v34
	v_addc_co_u32_e32 v35, vcc, 0, v35, vcc
	v_add_co_u32_e32 v8, vcc, v8, v36
	v_addc_co_u32_e32 v9, vcc, 0, v9, vcc
	v_cmp_ge_u64_e32 vcc, v[8:9], v[50:51]
	s_or_b64 s[26:27], vcc, s[26:27]
	v_add_co_u32_e32 v48, vcc, v48, v36
	v_addc_co_u32_e32 v49, vcc, 0, v49, vcc
	s_andn2_b64 exec, exec, s[26:27]
	s_cbranch_execz .LBB0_659
.LBB0_21:                               ; =>This Loop Header: Depth=1
                                        ;     Child Loop BB0_28 Depth 2
                                        ;     Child Loop BB0_45 Depth 2
	;; [unrolled: 1-line block ×5, first 2 shown]
                                        ;       Child Loop BB0_85 Depth 3
                                        ;       Child Loop BB0_101 Depth 3
	;; [unrolled: 1-line block ×3, first 2 shown]
                                        ;         Child Loop BB0_122 Depth 4
                                        ;       Child Loop BB0_362 Depth 3
                                        ;       Child Loop BB0_78 Depth 3
                                        ;     Child Loop BB0_381 Depth 2
                                        ;       Child Loop BB0_389 Depth 3
                                        ;     Child Loop BB0_647 Depth 2
	v_accvgpr_read_b32 v0, a28
	v_accvgpr_read_b32 v1, a29
	s_waitcnt vmcnt(0) lgkmcnt(0)
	flat_load_dword v2, v[0:1]
	v_sub_co_u32_e32 v0, vcc, v50, v8
	v_subb_co_u32_e32 v1, vcc, v51, v9, vcc
	v_cmp_lt_u64_e32 vcc, v[36:37], v[0:1]
	v_cndmask_b32_e32 v3, v0, v36, vcc
	v_lshl_add_u32 v0, v3, 1, 14
	v_and_b32_e32 v0, 0x7fffff0, v0
	v_accvgpr_write_b32 a44, v0
	s_mov_b64 s[16:17], exec
	v_accvgpr_write_b32 a43, v9
	s_and_b64 s[18:19], s[16:17], s[6:7]
	v_accvgpr_write_b32 a42, v8
	s_mov_b64 exec, s[18:19]
	s_cbranch_execz .LBB0_37
; %bb.22:                               ;   in Loop: Header=BB0_21 Depth=1
	v_add_co_u32_e32 v0, vcc, 1, v14
	v_addc_co_u32_e32 v1, vcc, 0, v15, vcc
	v_add_co_u32_e32 v4, vcc, 8, v52
	v_addc_co_u32_e32 v5, vcc, 0, v53, vcc
	v_cmp_lt_u64_e32 vcc, v[4:5], v[0:1]
	s_and_saveexec_b64 s[18:19], vcc
	s_cbranch_execz .LBB0_34
; %bb.23:                               ;   in Loop: Header=BB0_21 Depth=1
	s_sleep 1
	flat_load_dwordx2 v[52:53], v[32:33] glc
	v_cmp_eq_u32_e32 vcc, 0, v24
	s_and_saveexec_b64 s[44:45], vcc
	s_cbranch_execz .LBB0_33
; %bb.24:                               ;   in Loop: Header=BB0_21 Depth=1
	v_cndmask_b32_e64 v4, 0, 1, vcc
	s_mov_b64 s[46:47], 0
                                        ; implicit-def: $sgpr48_sgpr49
	s_branch .LBB0_28
.LBB0_25:                               ;   in Loop: Header=BB0_28 Depth=2
	s_or_b64 exec, exec, s[56:57]
	s_orn2_b64 s[54:55], s[54:55], exec
.LBB0_26:                               ;   in Loop: Header=BB0_28 Depth=2
	s_or_b64 exec, exec, s[52:53]
	s_xor_b64 vcc, s[54:55], -1
	s_andn2_b64 s[48:49], s[48:49], exec
	s_and_b64 vcc, vcc, exec
	s_or_b64 s[48:49], s[48:49], vcc
.LBB0_27:                               ;   in Loop: Header=BB0_28 Depth=2
	s_or_b64 exec, exec, s[50:51]
	s_and_b64 vcc, exec, s[48:49]
	s_or_b64 s[46:47], vcc, s[46:47]
	s_andn2_b64 exec, exec, s[46:47]
	s_cbranch_execz .LBB0_32
.LBB0_28:                               ;   Parent Loop BB0_21 Depth=1
                                        ; =>  This Inner Loop Header: Depth=2
	s_waitcnt vmcnt(0) lgkmcnt(0)
	v_add_co_u32_e32 v8, vcc, 8, v52
	v_addc_co_u32_e32 v9, vcc, 0, v53, vcc
	v_cmp_lt_u64_e32 vcc, v[8:9], v[0:1]
	v_mov_b32_e32 v24, 0
	s_or_b64 s[48:49], s[48:49], exec
	s_and_saveexec_b64 s[50:51], vcc
	s_cbranch_execz .LBB0_27
; %bb.29:                               ;   in Loop: Header=BB0_28 Depth=2
	s_sleep 1
	flat_load_dwordx2 v[52:53], v[32:33] glc
	v_add_u32_e32 v4, 1, v4
	v_cmp_eq_u32_e32 vcc, s61, v4
	s_mov_b64 s[54:55], -1
	v_mov_b32_e32 v24, 0
	s_and_saveexec_b64 s[52:53], vcc
	s_cbranch_execz .LBB0_26
; %bb.30:                               ;   in Loop: Header=BB0_28 Depth=2
	s_trap 2
	ds_read_b64 v[4:5], v0
	v_mov_b32_e32 v24, 0
	s_waitcnt vmcnt(0) lgkmcnt(0)
	flat_load_dword v5, v[4:5] glc
	s_waitcnt vmcnt(0) lgkmcnt(0)
	buffer_invl2
	buffer_wbinvl1_vol
	v_mov_b32_e32 v4, 0
	v_cmp_ne_u32_e32 vcc, 0, v5
	s_and_saveexec_b64 s[56:57], vcc
	s_cbranch_execz .LBB0_25
; %bb.31:                               ;   in Loop: Header=BB0_28 Depth=2
	v_mov_b32_e32 v24, 1
	s_xor_b64 s[54:55], exec, -1
	ds_write_b32 v0, v5
	s_trap 2
	s_branch .LBB0_25
.LBB0_32:                               ;   in Loop: Header=BB0_21 Depth=1
	s_or_b64 exec, exec, s[46:47]
	v_accvgpr_read_b32 v8, a42
	v_accvgpr_read_b32 v9, a43
.LBB0_33:                               ;   in Loop: Header=BB0_21 Depth=1
	s_or_b64 exec, exec, s[44:45]
.LBB0_34:                               ;   in Loop: Header=BB0_21 Depth=1
	s_or_b64 exec, exec, s[18:19]
	s_and_saveexec_b64 s[18:19], s[8:9]
	s_cbranch_execz .LBB0_36
; %bb.35:                               ;   in Loop: Header=BB0_21 Depth=1
	v_and_b32_e32 v40, 0x7ffffff8, v14
	v_mov_b32_e32 v4, s21
	v_cmp_eq_u64_e32 vcc, s[34:35], v[40:41]
	v_accvgpr_read_b32 v5, a44
	v_cndmask_b32_e32 v4, v5, v4, vcc
	v_and_b32_e32 v8, 7, v14
	v_ashrrev_i32_e32 v5, 31, v4
	v_mad_u64_u32 v[8:9], vcc, v8, 24, v[12:13]
	flat_store_dwordx2 v[8:9], v[4:5] offset:8
	s_waitcnt vmcnt(0)
	v_accvgpr_read_b32 v8, a42
	v_accvgpr_read_b32 v9, a43
.LBB0_36:                               ;   in Loop: Header=BB0_21 Depth=1
	s_or_b64 exec, exec, s[18:19]
	v_pk_mov_b32 v[14:15], v[0:1], v[0:1] op_sel:[0,1]
.LBB0_37:                               ;   in Loop: Header=BB0_21 Depth=1
	s_or_b64 exec, exec, s[16:17]
	s_and_saveexec_b64 s[16:17], s[10:11]
	s_cbranch_execz .LBB0_56
; %bb.38:                               ;   in Loop: Header=BB0_21 Depth=1
	s_and_saveexec_b64 s[18:19], s[28:29]
	s_xor_b64 s[18:19], exec, s[18:19]
	s_cbranch_execz .LBB0_53
; %bb.39:                               ;   in Loop: Header=BB0_21 Depth=1
	s_and_saveexec_b64 s[44:45], s[12:13]
	s_cbranch_execz .LBB0_52
; %bb.40:                               ;   in Loop: Header=BB0_21 Depth=1
	s_mov_b64 s[48:49], exec
	v_mbcnt_lo_u32_b32 v0, s48, 0
	v_mbcnt_hi_u32_b32 v0, s49, v0
	v_cmp_eq_u32_e32 vcc, 0, v0
	s_waitcnt vmcnt(0) lgkmcnt(0)
	buffer_wbinvl1_vol
	s_and_saveexec_b64 s[46:47], vcc
	s_cbranch_execz .LBB0_42
; %bb.41:                               ;   in Loop: Header=BB0_21 Depth=1
	s_bcnt1_i32_b64 vcc_lo, s[48:49]
	v_mov_b32_e32 v40, vcc_lo
	ds_add_u64 v0, v[40:41]
	s_trap 2
.LBB0_42:                               ;   in Loop: Header=BB0_21 Depth=1
	s_or_b64 exec, exec, s[46:47]
	s_trap 2
	ds_read_b64 v[0:1], v0
	v_accvgpr_read_b32 v4, a30
	v_add_co_u32_e32 v42, vcc, v42, v4
	v_accvgpr_read_b32 v5, a41
	v_addc_co_u32_e32 v43, vcc, v43, v5, vcc
	s_waitcnt lgkmcnt(0)
	v_cmp_lt_u64_e32 vcc, v[0:1], v[42:43]
	s_and_saveexec_b64 s[46:47], vcc
	s_cbranch_execz .LBB0_51
; %bb.43:                               ;   in Loop: Header=BB0_21 Depth=1
	s_mov_b32 s58, 0
	s_mov_b64 s[48:49], 0
                                        ; implicit-def: $sgpr50_sgpr51
                                        ; implicit-def: $sgpr52_sgpr53
	s_branch .LBB0_45
.LBB0_44:                               ;   in Loop: Header=BB0_45 Depth=2
	s_or_b64 exec, exec, s[56:57]
	s_and_b64 vcc, exec, vcc
	s_or_b64 s[48:49], vcc, s[48:49]
	s_andn2_b64 vcc, s[50:51], exec
	s_and_b64 s[50:51], s[52:53], exec
	s_or_b64 s[50:51], vcc, s[50:51]
	s_andn2_b64 exec, exec, s[48:49]
	s_cbranch_execz .LBB0_49
.LBB0_45:                               ;   Parent Loop BB0_21 Depth=1
                                        ; =>  This Inner Loop Header: Depth=2
	s_add_i32 s58, s58, 1
	s_cmpk_lg_i32 s58, 0x2710
	s_cselect_b64 s[54:55], -1, 0
	s_and_b64 vcc, exec, s[54:55]
                                        ; implicit-def: $sgpr56_sgpr57
	s_cbranch_vccnz .LBB0_47
; %bb.46:                               ;   in Loop: Header=BB0_45 Depth=2
	s_trap 2
	ds_read_b64 v[0:1], v0
	s_andn2_b64 s[54:55], s[54:55], exec
	s_mov_b32 s58, 0
	s_mov_b64 s[56:57], -1
	s_waitcnt lgkmcnt(0)
	flat_load_dword v0, v[0:1] glc
	s_waitcnt vmcnt(0) lgkmcnt(0)
	buffer_invl2
	buffer_wbinvl1_vol
	v_cmp_eq_u32_e32 vcc, 0, v0
	s_and_b64 vcc, vcc, exec
	s_or_b64 s[54:55], s[54:55], vcc
.LBB0_47:                               ;   in Loop: Header=BB0_45 Depth=2
	s_andn2_b64 s[52:53], s[52:53], exec
	s_and_b64 s[56:57], s[56:57], exec
	s_mov_b64 vcc, -1
	s_or_b64 s[52:53], s[52:53], s[56:57]
	s_and_saveexec_b64 s[56:57], s[54:55]
	s_cbranch_execz .LBB0_44
; %bb.48:                               ;   in Loop: Header=BB0_45 Depth=2
	s_sleep 1
	s_trap 2
	ds_read_b64 v[0:1], v0
	s_andn2_b64 s[52:53], s[52:53], exec
	s_waitcnt lgkmcnt(0)
	v_cmp_ge_u64_e32 vcc, v[0:1], v[42:43]
	s_orn2_b64 vcc, vcc, exec
	s_branch .LBB0_44
.LBB0_49:                               ;   in Loop: Header=BB0_21 Depth=1
	s_or_b64 exec, exec, s[48:49]
	s_and_saveexec_b64 vcc, s[50:51]
	s_xor_b64 vcc, exec, vcc
	s_cbranch_execz .LBB0_51
; %bb.50:                               ;   in Loop: Header=BB0_21 Depth=1
	v_mov_b32_e32 v0, 1
	ds_write_b32 v0, v0
	s_trap 2
.LBB0_51:                               ;   in Loop: Header=BB0_21 Depth=1
	s_or_b64 exec, exec, s[46:47]
	;;#ASMSTART
	s_wakeup
	;;#ASMEND
.LBB0_52:                               ;   in Loop: Header=BB0_21 Depth=1
	s_or_b64 exec, exec, s[44:45]
.LBB0_53:                               ;   in Loop: Header=BB0_21 Depth=1
	s_andn2_saveexec_b64 s[18:19], s[18:19]
	s_cbranch_execz .LBB0_55
; %bb.54:                               ;   in Loop: Header=BB0_21 Depth=1
	s_waitcnt vmcnt(0) lgkmcnt(0)
	buffer_wbinvl1_vol
	s_barrier
.LBB0_55:                               ;   in Loop: Header=BB0_21 Depth=1
	s_or_b64 exec, exec, s[18:19]
.LBB0_56:                               ;   in Loop: Header=BB0_21 Depth=1
	s_or_b64 exec, exec, s[16:17]
	v_accvgpr_read_b32 v0, a32
	v_sub_u32_e32 v60, v3, v0
	v_cmp_lt_i32_e64 s[16:17], 0, v60
	v_and_b32_e32 v1, 7, v16
	v_accvgpr_read_b32 v0, a2
	s_and_saveexec_b64 s[18:19], s[16:17]
	s_cbranch_execz .LBB0_64
; %bb.57:                               ;   in Loop: Header=BB0_21 Depth=1
	s_waitcnt vmcnt(0) lgkmcnt(0)
	v_ashrrev_i32_e32 v0, 31, v2
	v_pk_mov_b32 v[28:29], v[16:17], v[16:17] op_sel:[0,1]
	v_mov_b32_e32 v3, v16
	v_add_co_u32_e64 v8, vcc, 0, 0
	v_accvgpr_read_b32 v16, a26
	v_accvgpr_read_b32 v9, a27
	v_mul_lo_u32 v4, v1, s60
	v_addc_co_u32_e32 v3, vcc, 1, v3, vcc
	v_mad_u64_u32 v[10:11], vcc, v16, v2, v[48:49]
	v_mul_lo_u32 v9, v9, v2
	v_mul_lo_u32 v0, v16, v0
	v_ashrrev_i32_e32 v5, 31, v4
	v_add3_u32 v11, v9, v11, v0
	v_mul_lo_u32 v0, v16, v2
	v_add_lshl_u32 v9, v48, v0, 3
	v_lshlrev_b64 v[4:5], 4, v[4:5]
	v_accvgpr_read_b32 v0, a39
	v_add_co_u32_e32 v18, vcc, v0, v4
	v_accvgpr_read_b32 v0, a40
	v_addc_co_u32_e32 v19, vcc, v0, v5, vcc
	s_mov_b64 s[44:45], 0
	v_mov_b32_e32 v21, v60
	v_accvgpr_read_b32 v0, a2
	s_branch .LBB0_59
.LBB0_58:                               ;   in Loop: Header=BB0_59 Depth=2
	s_or_b64 exec, exec, s[46:47]
	v_add_co_u32_e32 v10, vcc, v10, v56
	s_waitcnt vmcnt(0)
	v_alignbit_b32 v2, v23, v2, v9
	v_alignbit_b32 v4, v22, v23, v9
	v_sub_u32_e32 v21, v21, v56
	v_addc_co_u32_e32 v11, vcc, v11, v57, vcc
	v_or_b32_e32 v2, v8, v2
	v_or_b32_e32 v4, v8, v4
	v_mov_b32_e32 v5, v3
	v_cmp_gt_i32_e32 vcc, 1, v21
	global_store_dwordx4 v[18:19], v[2:5], off
	s_or_b64 s[44:45], vcc, s[44:45]
	v_add_co_u32_e32 v18, vcc, v18, v58
	v_add_u32_e32 v0, v0, v20
	v_add_u32_e32 v9, v9, v45
	v_addc_co_u32_e32 v19, vcc, v19, v59, vcc
	s_andn2_b64 exec, exec, s[44:45]
	s_cbranch_execz .LBB0_63
.LBB0_59:                               ;   Parent Loop BB0_21 Depth=1
                                        ; =>  This Inner Loop Header: Depth=2
	v_and_b32_e32 v4, -4, v10
	v_mov_b32_e32 v5, v11
	global_load_dword v2, v[4:5], off glc slc
	v_min_u32_e32 v16, 8, v21
	v_and_b32_e32 v17, 3, v10
	v_add_co_u32_e32 v26, vcc, v17, v16
	v_addc_co_u32_e64 v27, vcc, 0, 0, vcc
	v_mov_b32_e32 v22, 0
	v_cmp_lt_u64_e32 vcc, 4, v[26:27]
	v_mov_b32_e32 v23, 0
	s_and_saveexec_b64 s[46:47], vcc
	s_cbranch_execz .LBB0_61
; %bb.60:                               ;   in Loop: Header=BB0_59 Depth=2
	global_load_dword v23, v[4:5], off offset:4 glc slc
.LBB0_61:                               ;   in Loop: Header=BB0_59 Depth=2
	s_or_b64 exec, exec, s[46:47]
	v_cmp_lt_u64_e32 vcc, 8, v[26:27]
	s_and_saveexec_b64 s[46:47], vcc
	s_cbranch_execz .LBB0_58
; %bb.62:                               ;   in Loop: Header=BB0_59 Depth=2
	global_load_dword v22, v[4:5], off offset:8 glc slc
	s_branch .LBB0_58
.LBB0_63:                               ;   in Loop: Header=BB0_21 Depth=1
	s_or_b64 exec, exec, s[44:45]
	v_accvgpr_read_b32 v8, a42
	v_accvgpr_read_b32 v9, a43
	v_pk_mov_b32 v[16:17], v[28:29], v[28:29] op_sel:[0,1]
.LBB0_64:                               ;   in Loop: Header=BB0_21 Depth=1
	s_or_b64 exec, exec, s[18:19]
	v_and_b32_e32 v40, 0x7ffffff8, v16
	v_cmp_eq_u64_e32 vcc, s[34:35], v[40:41]
	v_cmp_gt_i32_e64 s[18:19], s60, v0
	s_and_b64 s[18:19], vcc, s[18:19]
	s_and_saveexec_b64 s[44:45], s[18:19]
	s_cbranch_execz .LBB0_67
; %bb.65:                               ;   in Loop: Header=BB0_21 Depth=1
	v_mul_lo_u32 v4, v1, s60
	v_mov_b32_e32 v1, v16
	s_waitcnt vmcnt(0) lgkmcnt(0)
	v_add_co_u32_e64 v2, vcc, 0, 0
	v_ashrrev_i32_e32 v5, 31, v4
	v_addc_co_u32_e32 v3, vcc, 1, v1, vcc
	v_ashrrev_i32_e32 v1, 31, v0
	v_lshlrev_b64 v[8:9], 4, v[0:1]
	v_lshlrev_b64 v[4:5], 4, v[4:5]
	v_add_co_u32_e32 v1, vcc, v8, v4
	v_addc_co_u32_e32 v4, vcc, v9, v5, vcc
	v_accvgpr_read_b32 v8, a20
	v_accvgpr_read_b32 v9, a21
	v_add_co_u32_e32 v10, vcc, v8, v1
	v_addc_co_u32_e32 v11, vcc, v9, v4, vcc
	v_accvgpr_read_b32 v8, a42
	v_accvgpr_read_b32 v9, a43
	s_mov_b64 s[46:47], 0
.LBB0_66:                               ;   Parent Loop BB0_21 Depth=1
                                        ; =>  This Inner Loop Header: Depth=2
	v_mov_b32_e32 v4, v2
	v_mov_b32_e32 v5, v3
	v_add_u32_e32 v0, v0, v20
	global_store_dwordx4 v[10:11], v[2:5], off
	v_cmp_le_i32_e32 vcc, s60, v0
	v_add_co_u32_e64 v10, s[18:19], v10, v58
	s_or_b64 s[46:47], vcc, s[46:47]
	v_addc_co_u32_e64 v11, vcc, v11, v59, s[18:19]
	s_andn2_b64 exec, exec, s[46:47]
	s_cbranch_execnz .LBB0_66
.LBB0_67:                               ;   in Loop: Header=BB0_21 Depth=1
	s_or_b64 exec, exec, s[44:45]
	v_accvgpr_read_b32 v0, a8
	v_accvgpr_read_b32 v1, a9
	s_waitcnt vmcnt(0) lgkmcnt(0)
	v_add_co_u32_e32 v2, vcc, v8, v0
	v_addc_co_u32_e32 v1, vcc, v9, v1, vcc
	v_add_co_u32_e64 v28, s[18:19], 1, v16
	s_andn2_b64 vcc, exec, s[30:31]
	v_addc_co_u32_e64 v29, s[18:19], 0, v17, s[18:19]
	s_cbranch_vccnz .LBB0_373
; %bb.68:                               ;   in Loop: Header=BB0_21 Depth=1
	v_accvgpr_read_b32 v0, a31
	v_accvgpr_write_b32 a45, v2
	v_add_co_u32_e32 v2, vcc, v0, v2
	v_accvgpr_read_b32 v0, a33
	v_addc_co_u32_e32 v3, vcc, v0, v1, vcc
	v_accvgpr_write_b32 a36, v48
	v_accvgpr_write_b32 a49, v3
	;; [unrolled: 1-line block ×5, first 2 shown]
	v_add_u16_e32 v48, 1, v16
	s_mov_b32 s75, 2
	s_branch .LBB0_70
.LBB0_69:                               ;   in Loop: Header=BB0_70 Depth=2
	s_or_b64 exec, exec, s[44:45]
	v_add_co_u32_e32 v34, vcc, 1, v34
	v_addc_co_u32_e32 v35, vcc, 0, v35, vcc
	s_add_i32 s75, s75, 1
	v_add_co_u32_e32 v28, vcc, 1, v28
	v_addc_co_u32_e32 v29, vcc, 0, v29, vcc
	s_cmp_eq_u32 s75, s20
	v_add_u16_e32 v48, 1, v48
	s_cbranch_scc1 .LBB0_374
.LBB0_70:                               ;   Parent Loop BB0_21 Depth=1
                                        ; =>  This Loop Header: Depth=2
                                        ;       Child Loop BB0_85 Depth 3
                                        ;       Child Loop BB0_101 Depth 3
	;; [unrolled: 1-line block ×3, first 2 shown]
                                        ;         Child Loop BB0_122 Depth 4
                                        ;       Child Loop BB0_362 Depth 3
                                        ;       Child Loop BB0_78 Depth 3
	s_sub_i32 s18, s20, s75
	s_ashr_i32 s19, s18, 31
	s_lshl_b64 s[18:19], s[18:19], 2
	s_waitcnt vmcnt(0) lgkmcnt(0)
	v_accvgpr_read_b32 v2, a6
	v_mov_b32_e32 v1, s19
	v_accvgpr_read_b32 v3, a7
	v_add_co_u32_e32 v0, vcc, s18, v2
	v_addc_co_u32_e32 v1, vcc, v3, v1, vcc
	flat_load_dword v2, v[0:1]
	s_and_saveexec_b64 s[18:19], s[6:7]
	s_cbranch_execnz .LBB0_79
; %bb.71:                               ;   in Loop: Header=BB0_70 Depth=2
	s_or_b64 exec, exec, s[18:19]
	s_and_saveexec_b64 s[18:19], s[10:11]
	s_cbranch_execnz .LBB0_94
.LBB0_72:                               ;   in Loop: Header=BB0_70 Depth=2
	s_or_b64 exec, exec, s[18:19]
	v_accvgpr_read_b32 v0, a2
	s_and_saveexec_b64 s[44:45], s[16:17]
	s_cbranch_execnz .LBB0_112
.LBB0_73:                               ;   in Loop: Header=BB0_70 Depth=2
	s_or_b64 exec, exec, s[44:45]
	s_and_saveexec_b64 s[18:19], s[10:11]
	s_cbranch_execnz .LBB0_355
.LBB0_74:                               ;   in Loop: Header=BB0_70 Depth=2
	s_or_b64 exec, exec, s[18:19]
	s_and_saveexec_b64 s[18:19], s[14:15]
	s_cbranch_execz .LBB0_76
.LBB0_75:                               ;   in Loop: Header=BB0_70 Depth=2
	v_add_co_u32_e32 v38, vcc, 1, v38
	s_waitcnt vmcnt(0) lgkmcnt(0)
	v_accvgpr_read_b32 v2, a22
	v_addc_co_u32_e32 v39, vcc, 0, v39, vcc
	v_accvgpr_read_b32 v3, a23
	flat_store_dwordx2 v[2:3], v[38:39]
.LBB0_76:                               ;   in Loop: Header=BB0_70 Depth=2
	s_or_b64 exec, exec, s[18:19]
	v_and_b32_e32 v40, 0x7ffffff8, v28
	v_cmp_eq_u64_e32 vcc, s[34:35], v[40:41]
	v_cmp_gt_i32_e64 s[18:19], s60, v0
	s_and_b64 s[18:19], vcc, s[18:19]
	s_and_saveexec_b64 s[44:45], s[18:19]
	s_cbranch_execz .LBB0_69
; %bb.77:                               ;   in Loop: Header=BB0_70 Depth=2
	v_and_b32_e32 v1, 7, v48
	s_waitcnt vmcnt(0) lgkmcnt(0)
	v_mul_lo_u32 v2, s60, v1
	v_ashrrev_i32_e32 v3, 31, v2
	v_lshlrev_b64 v[4:5], 4, v[2:3]
	v_mov_b32_e32 v1, v28
	v_add_co_u32_e64 v2, vcc, 0, 0
	v_addc_co_u32_e32 v3, vcc, 1, v1, vcc
	v_ashrrev_i32_e32 v1, 31, v0
	v_lshlrev_b64 v[8:9], 4, v[0:1]
	v_add_co_u32_e32 v1, vcc, v8, v4
	v_addc_co_u32_e32 v4, vcc, v9, v5, vcc
	v_accvgpr_read_b32 v8, a20
	v_accvgpr_read_b32 v9, a21
	v_add_co_u32_e32 v10, vcc, v8, v1
	v_addc_co_u32_e32 v11, vcc, v9, v4, vcc
	v_accvgpr_read_b32 v8, a42
	v_accvgpr_read_b32 v9, a43
	s_mov_b64 s[46:47], 0
.LBB0_78:                               ;   Parent Loop BB0_21 Depth=1
                                        ;     Parent Loop BB0_70 Depth=2
                                        ; =>    This Inner Loop Header: Depth=3
	v_mov_b32_e32 v4, v2
	v_mov_b32_e32 v5, v3
	v_add_u32_e32 v0, v0, v20
	global_store_dwordx4 v[10:11], v[2:5], off
	v_cmp_le_i32_e32 vcc, s60, v0
	v_add_co_u32_e64 v10, s[18:19], v10, v58
	s_or_b64 s[46:47], vcc, s[46:47]
	v_addc_co_u32_e64 v11, vcc, v11, v59, s[18:19]
	s_andn2_b64 exec, exec, s[46:47]
	s_cbranch_execnz .LBB0_78
	s_branch .LBB0_69
.LBB0_79:                               ;   in Loop: Header=BB0_70 Depth=2
	v_add_co_u32_e32 v0, vcc, 1, v14
	v_addc_co_u32_e32 v1, vcc, 0, v15, vcc
	v_add_co_u32_e32 v4, vcc, 8, v52
	v_addc_co_u32_e32 v5, vcc, 0, v53, vcc
	v_cmp_lt_u64_e32 vcc, v[4:5], v[0:1]
	s_and_saveexec_b64 s[44:45], vcc
	s_cbranch_execz .LBB0_91
; %bb.80:                               ;   in Loop: Header=BB0_70 Depth=2
	s_sleep 1
	flat_load_dwordx2 v[52:53], v[32:33] glc
	v_cmp_eq_u32_e32 vcc, 0, v24
	s_and_saveexec_b64 s[46:47], vcc
	s_cbranch_execz .LBB0_90
; %bb.81:                               ;   in Loop: Header=BB0_70 Depth=2
	v_cndmask_b32_e64 v3, 0, 1, vcc
	s_mov_b64 s[48:49], 0
                                        ; implicit-def: $sgpr50_sgpr51
	s_branch .LBB0_85
.LBB0_82:                               ;   in Loop: Header=BB0_85 Depth=3
	s_or_b64 exec, exec, s[58:59]
	s_orn2_b64 s[56:57], s[56:57], exec
.LBB0_83:                               ;   in Loop: Header=BB0_85 Depth=3
	s_or_b64 exec, exec, s[54:55]
	s_xor_b64 vcc, s[56:57], -1
	s_andn2_b64 s[50:51], s[50:51], exec
	s_and_b64 vcc, vcc, exec
	s_or_b64 s[50:51], s[50:51], vcc
.LBB0_84:                               ;   in Loop: Header=BB0_85 Depth=3
	s_or_b64 exec, exec, s[52:53]
	s_and_b64 vcc, exec, s[50:51]
	s_or_b64 s[48:49], vcc, s[48:49]
	s_andn2_b64 exec, exec, s[48:49]
	s_cbranch_execz .LBB0_89
.LBB0_85:                               ;   Parent Loop BB0_21 Depth=1
                                        ;     Parent Loop BB0_70 Depth=2
                                        ; =>    This Inner Loop Header: Depth=3
	s_waitcnt vmcnt(0) lgkmcnt(0)
	v_add_co_u32_e32 v4, vcc, 8, v52
	v_addc_co_u32_e32 v5, vcc, 0, v53, vcc
	v_cmp_lt_u64_e32 vcc, v[4:5], v[0:1]
	v_mov_b32_e32 v24, 0
	s_or_b64 s[50:51], s[50:51], exec
	s_and_saveexec_b64 s[52:53], vcc
	s_cbranch_execz .LBB0_84
; %bb.86:                               ;   in Loop: Header=BB0_85 Depth=3
	s_sleep 1
	flat_load_dwordx2 v[52:53], v[32:33] glc
	v_add_u32_e32 v3, 1, v3
	v_cmp_eq_u32_e32 vcc, s61, v3
	s_mov_b64 s[56:57], -1
	v_mov_b32_e32 v24, 0
	s_and_saveexec_b64 s[54:55], vcc
	s_cbranch_execz .LBB0_83
; %bb.87:                               ;   in Loop: Header=BB0_85 Depth=3
	s_trap 2
	ds_read_b64 v[4:5], v0
	v_mov_b32_e32 v3, 0
	v_mov_b32_e32 v24, 0
	s_waitcnt vmcnt(0) lgkmcnt(0)
	flat_load_dword v4, v[4:5] glc
	s_waitcnt vmcnt(0) lgkmcnt(0)
	buffer_invl2
	buffer_wbinvl1_vol
	v_cmp_ne_u32_e32 vcc, 0, v4
	s_and_saveexec_b64 s[58:59], vcc
	s_cbranch_execz .LBB0_82
; %bb.88:                               ;   in Loop: Header=BB0_85 Depth=3
	v_mov_b32_e32 v24, 1
	s_xor_b64 s[56:57], exec, -1
	ds_write_b32 v0, v4
	s_trap 2
	s_branch .LBB0_82
.LBB0_89:                               ;   in Loop: Header=BB0_70 Depth=2
	s_or_b64 exec, exec, s[48:49]
.LBB0_90:                               ;   in Loop: Header=BB0_70 Depth=2
	s_or_b64 exec, exec, s[46:47]
.LBB0_91:                               ;   in Loop: Header=BB0_70 Depth=2
	s_or_b64 exec, exec, s[44:45]
	s_and_saveexec_b64 s[44:45], s[8:9]
	s_cbranch_execz .LBB0_93
; %bb.92:                               ;   in Loop: Header=BB0_70 Depth=2
	v_and_b32_e32 v40, 0x7ffffff8, v14
	v_mov_b32_e32 v3, s21
	v_cmp_eq_u64_e32 vcc, s[34:35], v[40:41]
	v_accvgpr_read_b32 v4, a44
	v_cndmask_b32_e32 v4, v4, v3, vcc
	v_and_b32_e32 v3, 7, v14
	v_ashrrev_i32_e32 v5, 31, v4
	v_mad_u64_u32 v[8:9], vcc, v3, 24, v[12:13]
	flat_store_dwordx2 v[8:9], v[4:5] offset:8
	s_waitcnt vmcnt(0)
	v_accvgpr_read_b32 v8, a42
	v_accvgpr_read_b32 v9, a43
.LBB0_93:                               ;   in Loop: Header=BB0_70 Depth=2
	s_or_b64 exec, exec, s[44:45]
	v_pk_mov_b32 v[14:15], v[0:1], v[0:1] op_sel:[0,1]
	s_or_b64 exec, exec, s[18:19]
	s_and_saveexec_b64 s[18:19], s[10:11]
	s_cbranch_execz .LBB0_72
.LBB0_94:                               ;   in Loop: Header=BB0_70 Depth=2
	s_and_saveexec_b64 vcc, s[28:29]
	s_xor_b64 s[44:45], exec, vcc
	s_cbranch_execz .LBB0_109
; %bb.95:                               ;   in Loop: Header=BB0_70 Depth=2
	s_and_saveexec_b64 s[46:47], s[12:13]
	s_cbranch_execz .LBB0_108
; %bb.96:                               ;   in Loop: Header=BB0_70 Depth=2
	s_mov_b64 s[50:51], exec
	v_mbcnt_lo_u32_b32 v0, s50, 0
	v_mbcnt_hi_u32_b32 v0, s51, v0
	v_cmp_eq_u32_e32 vcc, 0, v0
	s_waitcnt vmcnt(0) lgkmcnt(0)
	buffer_wbinvl1_vol
	s_and_saveexec_b64 s[48:49], vcc
	s_cbranch_execz .LBB0_98
; %bb.97:                               ;   in Loop: Header=BB0_70 Depth=2
	s_bcnt1_i32_b64 vcc_lo, s[50:51]
	v_mov_b32_e32 v40, vcc_lo
	ds_add_u64 v0, v[40:41]
	s_trap 2
.LBB0_98:                               ;   in Loop: Header=BB0_70 Depth=2
	s_or_b64 exec, exec, s[48:49]
	s_trap 2
	ds_read_b64 v[0:1], v0
	v_accvgpr_read_b32 v4, a30
	v_add_co_u32_e32 v42, vcc, v42, v4
	v_accvgpr_read_b32 v3, a41
	v_addc_co_u32_e32 v43, vcc, v43, v3, vcc
	s_waitcnt lgkmcnt(0)
	v_cmp_lt_u64_e32 vcc, v[0:1], v[42:43]
	s_and_saveexec_b64 s[48:49], vcc
	s_cbranch_execz .LBB0_107
; %bb.99:                               ;   in Loop: Header=BB0_70 Depth=2
	s_mov_b32 s76, 0
	s_mov_b64 s[50:51], 0
                                        ; implicit-def: $sgpr52_sgpr53
                                        ; implicit-def: $sgpr54_sgpr55
	s_branch .LBB0_101
.LBB0_100:                              ;   in Loop: Header=BB0_101 Depth=3
	s_or_b64 exec, exec, s[58:59]
	s_and_b64 vcc, exec, vcc
	s_or_b64 s[50:51], vcc, s[50:51]
	s_andn2_b64 vcc, s[52:53], exec
	s_and_b64 s[52:53], s[54:55], exec
	s_or_b64 s[52:53], vcc, s[52:53]
	s_andn2_b64 exec, exec, s[50:51]
	s_cbranch_execz .LBB0_105
.LBB0_101:                              ;   Parent Loop BB0_21 Depth=1
                                        ;     Parent Loop BB0_70 Depth=2
                                        ; =>    This Inner Loop Header: Depth=3
	s_add_i32 s76, s76, 1
	s_cmpk_lg_i32 s76, 0x2710
	s_cselect_b64 s[56:57], -1, 0
	s_and_b64 vcc, exec, s[56:57]
                                        ; implicit-def: $sgpr58_sgpr59
	s_cbranch_vccnz .LBB0_103
; %bb.102:                              ;   in Loop: Header=BB0_101 Depth=3
	s_trap 2
	ds_read_b64 v[0:1], v0
	s_andn2_b64 s[56:57], s[56:57], exec
	s_mov_b32 s76, 0
	s_mov_b64 s[58:59], -1
	s_waitcnt lgkmcnt(0)
	flat_load_dword v0, v[0:1] glc
	s_waitcnt vmcnt(0) lgkmcnt(0)
	buffer_invl2
	buffer_wbinvl1_vol
	v_cmp_eq_u32_e32 vcc, 0, v0
	s_and_b64 vcc, vcc, exec
	s_or_b64 s[56:57], s[56:57], vcc
.LBB0_103:                              ;   in Loop: Header=BB0_101 Depth=3
	s_andn2_b64 s[54:55], s[54:55], exec
	s_and_b64 s[58:59], s[58:59], exec
	s_mov_b64 vcc, -1
	s_or_b64 s[54:55], s[54:55], s[58:59]
	s_and_saveexec_b64 s[58:59], s[56:57]
	s_cbranch_execz .LBB0_100
; %bb.104:                              ;   in Loop: Header=BB0_101 Depth=3
	s_sleep 1
	s_trap 2
	ds_read_b64 v[0:1], v0
	s_andn2_b64 s[54:55], s[54:55], exec
	s_waitcnt lgkmcnt(0)
	v_cmp_ge_u64_e32 vcc, v[0:1], v[42:43]
	s_orn2_b64 vcc, vcc, exec
	s_branch .LBB0_100
.LBB0_105:                              ;   in Loop: Header=BB0_70 Depth=2
	s_or_b64 exec, exec, s[50:51]
	s_and_saveexec_b64 vcc, s[52:53]
	s_xor_b64 vcc, exec, vcc
	s_cbranch_execz .LBB0_107
; %bb.106:                              ;   in Loop: Header=BB0_70 Depth=2
	v_mov_b32_e32 v0, 1
	ds_write_b32 v0, v0
	s_trap 2
.LBB0_107:                              ;   in Loop: Header=BB0_70 Depth=2
	s_or_b64 exec, exec, s[48:49]
	;;#ASMSTART
	s_wakeup
	;;#ASMEND
.LBB0_108:                              ;   in Loop: Header=BB0_70 Depth=2
	s_or_b64 exec, exec, s[46:47]
.LBB0_109:                              ;   in Loop: Header=BB0_70 Depth=2
	s_andn2_saveexec_b64 vcc, s[44:45]
	s_cbranch_execz .LBB0_111
; %bb.110:                              ;   in Loop: Header=BB0_70 Depth=2
	s_waitcnt vmcnt(0) lgkmcnt(0)
	buffer_wbinvl1_vol
	s_barrier
.LBB0_111:                              ;   in Loop: Header=BB0_70 Depth=2
	s_or_b64 exec, exec, vcc
	s_or_b64 exec, exec, s[18:19]
	v_accvgpr_read_b32 v0, a2
	s_and_saveexec_b64 s[44:45], s[16:17]
	s_cbranch_execz .LBB0_73
.LBB0_112:                              ;   in Loop: Header=BB0_70 Depth=2
	v_accvgpr_read_b32 v4, a48
	s_waitcnt vmcnt(0) lgkmcnt(0)
	v_ashrrev_i32_e32 v0, 31, v2
	v_accvgpr_read_b32 v3, a26
	v_accvgpr_read_b32 v5, a49
	;; [unrolled: 1-line block ×3, first 2 shown]
	v_accvgpr_write_b32 a38, v45
	v_mad_u64_u32 v[44:45], s[18:19], v3, v2, v[4:5]
	v_mul_lo_u32 v1, v1, v2
	v_mul_lo_u32 v0, v3, v0
	v_add3_u32 v45, v1, v45, v0
	v_and_b32_e32 v0, 7, v34
	v_mul_lo_u32 v0, v0, s60
	v_ashrrev_i32_e32 v1, 31, v0
	v_lshlrev_b64 v[0:1], 4, v[0:1]
	v_accvgpr_read_b32 v2, a18
	v_add_co_u32_e32 v49, vcc, v2, v0
	v_and_b32_e32 v0, 7, v28
	v_accvgpr_read_b32 v3, a19
	v_mul_lo_u32 v0, v0, s60
	v_addc_co_u32_e32 v31, vcc, v3, v1, vcc
	v_ashrrev_i32_e32 v1, 31, v0
	v_lshlrev_b64 v[0:1], 4, v[0:1]
	v_accvgpr_read_b32 v2, a20
	v_accvgpr_read_b32 v3, a21
	v_add_co_u32_e32 v9, vcc, v2, v0
	v_addc_co_u32_e32 v32, vcc, v3, v1, vcc
	v_mov_b32_e32 v1, v28
	v_add_co_u32_e64 v33, vcc, 0, 0
	v_add_u32_e32 v8, 1, v34
	v_addc_co_u32_e32 v3, vcc, 1, v1, vcc
	s_mov_b64 s[46:47], 0
	v_mov_b32_e32 v21, v60
	v_accvgpr_read_b32 v0, a2
	s_branch .LBB0_114
.LBB0_113:                              ;   in Loop: Header=BB0_114 Depth=3
	s_or_b64 exec, exec, s[18:19]
	v_and_b32_e32 v2, 0xff, v61
	v_lshlrev_b32_e32 v11, 8, v17
	v_add_co_u32_e32 v44, vcc, v44, v56
	v_lshlrev_b32_e32 v2, 16, v2
	v_perm_b32 v1, v11, v1, s71
	v_lshlrev_b32_e32 v11, 8, v26
	v_addc_co_u32_e32 v45, vcc, v45, v57, vcc
	v_lshl_or_b32 v2, v16, 24, v2
	v_lshlrev_b32_e32 v16, 24, v10
	v_perm_b32 v10, v11, v19, s71
	v_lshl_or_b32 v17, v27, 16, v10
	v_add_co_u32_e32 v10, vcc, v9, v4
	v_addc_co_u32_e32 v11, vcc, v32, v5, vcc
	v_sub_u32_e32 v21, v21, v56
	v_cmp_gt_i32_e32 vcc, 1, v21
	v_or3_b32 v2, v2, v1, v33
	v_or3_b32 v4, v16, v17, v33
	v_mov_b32_e32 v5, v3
	s_or_b64 s[46:47], vcc, s[46:47]
	v_add_u32_e32 v0, v0, v20
	global_store_dwordx4 v[10:11], v[2:5], off
	s_andn2_b64 exec, exec, s[46:47]
	s_cbranch_execz .LBB0_354
.LBB0_114:                              ;   Parent Loop BB0_21 Depth=1
                                        ;     Parent Loop BB0_70 Depth=2
                                        ; =>    This Loop Header: Depth=3
                                        ;         Child Loop BB0_122 Depth 4
	v_and_b32_e32 v4, -4, v44
	v_mov_b32_e32 v5, v45
	global_load_dword v2, v[4:5], off glc slc
	v_min_u32_e32 v1, 8, v21
	v_and_b32_e32 v10, 3, v44
	v_add_co_u32_e32 v10, vcc, v10, v1
	v_addc_co_u32_e64 v11, s[18:19], 0, 0, vcc
	v_mov_b32_e32 v62, 0
	v_cmp_lt_u64_e32 vcc, 4, v[10:11]
	v_mov_b32_e32 v26, 0
	s_and_saveexec_b64 s[18:19], vcc
	s_cbranch_execz .LBB0_116
; %bb.115:                              ;   in Loop: Header=BB0_114 Depth=3
	global_load_dword v26, v[4:5], off offset:4 glc slc
.LBB0_116:                              ;   in Loop: Header=BB0_114 Depth=3
	s_or_b64 exec, exec, s[18:19]
	v_cmp_lt_u64_e32 vcc, 8, v[10:11]
	s_and_saveexec_b64 s[18:19], vcc
	s_cbranch_execz .LBB0_118
; %bb.117:                              ;   in Loop: Header=BB0_114 Depth=3
	global_load_dword v62, v[4:5], off offset:8 glc slc
.LBB0_118:                              ;   in Loop: Header=BB0_114 Depth=3
	s_or_b64 exec, exec, s[18:19]
	v_ashrrev_i32_e32 v1, 31, v0
	v_lshlrev_b64 v[4:5], 4, v[0:1]
	v_add_co_u32_e32 v10, vcc, v49, v4
	v_addc_co_u32_e32 v11, vcc, v31, v5, vcc
	global_load_dwordx4 v[16:19], v[10:11], off glc slc
	v_cmp_eq_u32_e32 vcc, 0, v24
	s_and_saveexec_b64 s[48:49], vcc
	s_cbranch_execz .LBB0_130
; %bb.119:                              ;   in Loop: Header=BB0_114 Depth=3
	s_waitcnt vmcnt(0)
	v_cmp_ne_u32_e32 vcc, v8, v17
	v_cmp_ne_u32_e64 s[18:19], v8, v19
	s_or_b64 s[18:19], vcc, s[18:19]
	v_mov_b32_e32 v24, 0
	s_and_saveexec_b64 s[50:51], s[18:19]
	s_cbranch_execz .LBB0_129
; %bb.120:                              ;   in Loop: Header=BB0_114 Depth=3
	s_mov_b32 s56, 1
	s_mov_b64 s[52:53], 0
	v_mov_b32_e32 v24, 0
	s_branch .LBB0_122
.LBB0_121:                              ;   in Loop: Header=BB0_122 Depth=4
	s_or_b64 exec, exec, s[54:55]
	s_and_b64 s[18:19], exec, s[18:19]
	s_or_b64 s[52:53], s[18:19], s[52:53]
	s_andn2_b64 exec, exec, s[52:53]
	s_cbranch_execz .LBB0_128
.LBB0_122:                              ;   Parent Loop BB0_21 Depth=1
                                        ;     Parent Loop BB0_70 Depth=2
                                        ;       Parent Loop BB0_114 Depth=3
                                        ; =>      This Inner Loop Header: Depth=4
	global_load_dwordx4 v[16:19], v[10:11], off glc slc
	s_add_i32 s56, s56, 1
	s_cmpk_lg_i32 s56, 0x2710
	s_cbranch_scc1 .LBB0_126
; %bb.123:                              ;   in Loop: Header=BB0_122 Depth=4
	s_trap 2
	ds_read_b64 v[22:23], v0
	s_waitcnt vmcnt(0) lgkmcnt(0)
	flat_load_dword v1, v[22:23] glc
	s_waitcnt vmcnt(0) lgkmcnt(0)
	buffer_invl2
	buffer_wbinvl1_vol
	v_cmp_ne_u32_e32 vcc, 0, v1
	s_and_saveexec_b64 s[18:19], vcc
	s_cbranch_execz .LBB0_125
; %bb.124:                              ;   in Loop: Header=BB0_122 Depth=4
	v_mov_b32_e32 v24, 1
	ds_write_b32 v0, v1
	s_trap 2
.LBB0_125:                              ;   in Loop: Header=BB0_122 Depth=4
	s_or_b64 exec, exec, s[18:19]
	s_mov_b32 s56, 0
	v_mov_b32_e32 v1, v24
	v_cmp_eq_u32_e32 vcc, 0, v1
	s_mov_b64 s[18:19], -1
	s_and_saveexec_b64 s[54:55], vcc
	s_cbranch_execz .LBB0_121
	s_branch .LBB0_127
.LBB0_126:                              ;   in Loop: Header=BB0_122 Depth=4
	v_mov_b32_e32 v1, 0
	v_cmp_eq_u32_e32 vcc, 0, v1
	s_mov_b64 s[18:19], -1
	s_and_saveexec_b64 s[54:55], vcc
	s_cbranch_execz .LBB0_121
.LBB0_127:                              ;   in Loop: Header=BB0_122 Depth=4
	s_waitcnt vmcnt(0)
	v_cmp_eq_u32_e32 vcc, v8, v17
	v_cmp_eq_u32_e64 s[18:19], v8, v19
	s_and_b64 s[18:19], vcc, s[18:19]
	s_orn2_b64 s[18:19], s[18:19], exec
	s_branch .LBB0_121
.LBB0_128:                              ;   in Loop: Header=BB0_114 Depth=3
	s_or_b64 exec, exec, s[52:53]
.LBB0_129:                              ;   in Loop: Header=BB0_114 Depth=3
	s_or_b64 exec, exec, s[50:51]
.LBB0_130:                              ;   in Loop: Header=BB0_114 Depth=3
	s_or_b64 exec, exec, s[48:49]
	s_waitcnt vmcnt(0)
	v_cmp_ne_u16_sdwa vcc, v16, v41 src0_sel:BYTE_0 src1_sel:DWORD
	v_mov_b32_e32 v1, 0
	v_mov_b32_e32 v10, 0
	s_and_saveexec_b64 s[18:19], vcc
	s_cbranch_execz .LBB0_138
; %bb.131:                              ;   in Loop: Header=BB0_114 Depth=3
	v_cmp_ne_u16_sdwa vcc, sext(v16), s63 src0_sel:BYTE_0 src1_sel:DWORD
	v_bfrev_b32_e32 v10, 1
	s_and_saveexec_b64 s[48:49], vcc
	s_cbranch_execz .LBB0_137
; %bb.132:                              ;   in Loop: Header=BB0_114 Depth=3
	v_and_b32_e32 v10, 0x7c, v16
	v_and_b32_e32 v11, 3, v16
	v_cmp_ne_u32_e32 vcc, s64, v10
                                        ; implicit-def: $vgpr10
	s_and_saveexec_b64 s[50:51], vcc
	s_xor_b64 s[50:51], exec, s[50:51]
	s_cbranch_execz .LBB0_134
; %bb.133:                              ;   in Loop: Header=BB0_114 Depth=3
	v_ffbh_u32_e32 v22, v11
	v_min_u32_e32 v27, 32, v22
	v_bfe_u32 v10, v16, 2, 5
	v_subrev_u32_e32 v22, 29, v27
	v_lshlrev_b64 v[22:23], v22, v[16:17]
	v_sub_u32_e32 v17, 30, v27
	v_cmp_eq_u32_e32 vcc, 0, v10
	v_cndmask_b32_e32 v10, v10, v17, vcc
	v_and_b32_e32 v22, 3, v22
	v_lshlrev_b32_e32 v17, 24, v16
	v_lshl_add_u32 v10, v10, 23, v25
	v_cndmask_b32_e32 v11, v11, v22, vcc
	v_and_or_b32 v10, v17, s65, v10
	v_lshl_or_b32 v10, v11, 21, v10
                                        ; implicit-def: $vgpr11
.LBB0_134:                              ;   in Loop: Header=BB0_114 Depth=3
	s_andn2_saveexec_b64 s[50:51], s[50:51]
; %bb.135:                              ;   in Loop: Header=BB0_114 Depth=3
	v_cmp_gt_i16_sdwa vcc, sext(v16), v30 src0_sel:BYTE_0 src1_sel:DWORD
	v_cndmask_b32_e32 v10, v47, v6, vcc
	v_cmp_eq_u32_e32 vcc, 0, v11
	v_cndmask_b32_e32 v10, v7, v10, vcc
; %bb.136:                              ;   in Loop: Header=BB0_114 Depth=3
	s_or_b64 exec, exec, s[50:51]
.LBB0_137:                              ;   in Loop: Header=BB0_114 Depth=3
	s_or_b64 exec, exec, s[48:49]
.LBB0_138:                              ;   in Loop: Header=BB0_114 Depth=3
	s_or_b64 exec, exec, s[18:19]
	v_lshlrev_b32_e32 v27, 3, v44
	v_alignbit_b32 v40, v26, v2, v27
	v_cmp_ne_u16_sdwa vcc, v40, v41 src0_sel:BYTE_0 src1_sel:DWORD
	s_and_saveexec_b64 s[18:19], vcc
	s_cbranch_execz .LBB0_146
; %bb.139:                              ;   in Loop: Header=BB0_114 Depth=3
	v_cmp_ne_u16_sdwa vcc, sext(v40), s63 src0_sel:BYTE_0 src1_sel:DWORD
	v_bfrev_b32_e32 v1, 1
	s_and_saveexec_b64 s[48:49], vcc
	s_cbranch_execz .LBB0_145
; %bb.140:                              ;   in Loop: Header=BB0_114 Depth=3
	v_and_b32_e32 v1, 0x7c, v40
	v_and_b32_e32 v2, 3, v40
	v_cmp_ne_u32_e32 vcc, s64, v1
                                        ; implicit-def: $vgpr1
	s_and_saveexec_b64 s[50:51], vcc
	s_xor_b64 s[50:51], exec, s[50:51]
	s_cbranch_execz .LBB0_142
; %bb.141:                              ;   in Loop: Header=BB0_114 Depth=3
	v_ffbh_u32_e32 v11, v2
	v_bfe_u32 v1, v40, 2, 5
	v_min_u32_e32 v11, 32, v11
	v_subrev_u32_e32 v17, 29, v11
	v_sub_u32_e32 v11, 30, v11
	v_cmp_eq_u32_e32 vcc, 0, v1
	v_lshlrev_b64 v[22:23], v17, v[40:41]
	v_cndmask_b32_e32 v1, v1, v11, vcc
	v_and_b32_e32 v17, 3, v22
	v_lshlrev_b32_e32 v11, 24, v40
	v_lshl_add_u32 v1, v1, 23, v25
	v_cndmask_b32_e32 v2, v2, v17, vcc
	v_and_or_b32 v1, v11, s65, v1
	v_lshl_or_b32 v1, v2, 21, v1
                                        ; implicit-def: $vgpr2
.LBB0_142:                              ;   in Loop: Header=BB0_114 Depth=3
	s_andn2_saveexec_b64 s[50:51], s[50:51]
; %bb.143:                              ;   in Loop: Header=BB0_114 Depth=3
	v_cmp_gt_i16_sdwa vcc, sext(v40), v30 src0_sel:BYTE_0 src1_sel:DWORD
	v_cndmask_b32_e32 v1, v47, v6, vcc
	v_cmp_eq_u32_e32 vcc, 0, v2
	v_cndmask_b32_e32 v1, v7, v1, vcc
; %bb.144:                              ;   in Loop: Header=BB0_114 Depth=3
	s_or_b64 exec, exec, s[50:51]
.LBB0_145:                              ;   in Loop: Header=BB0_114 Depth=3
	s_or_b64 exec, exec, s[48:49]
.LBB0_146:                              ;   in Loop: Header=BB0_114 Depth=3
	s_or_b64 exec, exec, s[18:19]
	v_mul_f32_e32 v17, v10, v1
	v_and_b32_sdwa v2, v17, s66 dst_sel:DWORD dst_unused:UNUSED_PAD src0_sel:BYTE_3 src1_sel:DWORD
	v_and_b32_e32 v22, 0x7f800000, v17
	v_mov_b32_e32 v23, v41
	v_and_b32_e32 v10, 0x7fffff, v17
	v_mov_b32_e32 v11, v41
	v_or_b32_e32 v1, 0x7b, v2
	v_cmp_ne_u64_e32 vcc, s[38:39], v[22:23]
	s_and_saveexec_b64 s[18:19], vcc
	s_xor_b64 s[48:49], exec, s[18:19]
	s_cbranch_execz .LBB0_156
; %bb.147:                              ;   in Loop: Header=BB0_114 Depth=3
	v_and_b32_e32 v22, 0x7fffffff, v17
	v_mov_b32_e32 v23, v41
	v_cmp_gt_u64_e32 vcc, s[40:41], v[22:23]
	s_and_saveexec_b64 s[50:51], vcc
	s_cbranch_execz .LBB0_155
; %bb.148:                              ;   in Loop: Header=BB0_114 Depth=3
	v_cmp_ne_u32_e32 vcc, 0, v17
	v_mov_b32_e32 v1, 0
	s_and_saveexec_b64 s[52:53], vcc
	s_cbranch_execz .LBB0_154
; %bb.149:                              ;   in Loop: Header=BB0_114 Depth=3
	v_bfe_u32 v1, v17, 23, 8
	v_sub_u32_e32 v22, 0x71, v1
	v_cmp_gt_u32_e32 vcc, s67, v1
	v_add_u32_e32 v17, 0xffffff81, v1
	v_cndmask_b32_e32 v22, 0, v22, vcc
	v_cmp_eq_u32_e32 vcc, 0, v1
	v_cndmask_b32_e32 v1, v17, v54, vcc
	v_cndmask_b32_e32 v17, v22, v55, vcc
	v_or_b32_e32 v23, 0x800000, v10
	v_add_u32_e32 v22, 21, v17
	v_cndmask_b32_e32 v10, v23, v10, vcc
	v_lshlrev_b64 v[22:23], v22, -1
	v_not_b32_e32 v22, v22
	v_and_b32_e32 v36, v10, v22
	v_add_u32_e32 v22, 20, v17
	v_lshrrev_b64 v[10:11], v17, v[10:11]
	v_not_b32_e32 v23, v23
	v_lshlrev_b64 v[50:51], v22, 1
	v_lshrrev_b32_e32 v22, 23, v10
	v_and_b32_e32 v37, 0, v23
	v_add3_u32 v22, v17, v1, v22
	v_bfe_u32 v1, v10, 21, 1
	v_add_u32_e32 v1, -1, v1
	v_cmp_eq_u64_e32 vcc, v[36:37], v[50:51]
	v_cndmask_b32_e32 v1, 0, v1, vcc
	v_add_u32_e32 v1, v1, v10
	v_and_b32_e32 v1, 0x1fffff, v1
	v_add_co_u32_e32 v10, vcc, v1, v10
	v_add_u32_e32 v17, 14, v22
	v_addc_co_u32_e32 v11, vcc, 0, v11, vcc
	v_cmp_ne_u32_e32 vcc, 0, v17
                                        ; implicit-def: $vgpr1
	s_and_saveexec_b64 s[18:19], vcc
	s_xor_b64 s[18:19], exec, s[18:19]
; %bb.150:                              ;   in Loop: Header=BB0_114 Depth=3
	v_add_u32_e32 v1, 15, v22
	v_cmp_lt_u64_e32 vcc, s[42:43], v[10:11]
	v_cndmask_b32_e32 v1, v17, v1, vcc
	v_cndmask_b32_e64 v17, 0, 1, vcc
	v_lshrrev_b64 v[10:11], v17, v[10:11]
; %bb.151:                              ;   in Loop: Header=BB0_114 Depth=3
	s_andn2_saveexec_b64 s[18:19], s[18:19]
; %bb.152:                              ;   in Loop: Header=BB0_114 Depth=3
	v_bfe_u32 v1, v10, 23, 1
; %bb.153:                              ;   in Loop: Header=BB0_114 Depth=3
	s_or_b64 exec, exec, s[18:19]
	v_lshrrev_b64 v[10:11], 21, v[10:11]
	v_cmp_gt_i32_e32 vcc, 32, v1
	v_cndmask_b32_e32 v11, 0, v11, vcc
	v_cndmask_b32_e32 v10, 3, v10, vcc
	v_cmp_eq_u32_e32 vcc, 0, v1
	v_min_i32_e32 v1, 31, v1
	v_cmp_eq_u64_e64 s[18:19], 0, v[10:11]
	v_lshlrev_b32_e32 v1, 2, v1
	v_and_or_b32 v1, v10, 3, v1
	s_and_b64 s[18:19], vcc, s[18:19]
	v_cndmask_b32_e64 v1, v1, 0, s[18:19]
	v_or_b32_e32 v1, v1, v2
.LBB0_154:                              ;   in Loop: Header=BB0_114 Depth=3
	s_or_b64 exec, exec, s[52:53]
.LBB0_155:                              ;   in Loop: Header=BB0_114 Depth=3
	s_or_b64 exec, exec, s[50:51]
                                        ; implicit-def: $vgpr17
                                        ; implicit-def: $vgpr10_vgpr11
.LBB0_156:                              ;   in Loop: Header=BB0_114 Depth=3
	s_andn2_saveexec_b64 s[18:19], s[48:49]
; %bb.157:                              ;   in Loop: Header=BB0_114 Depth=3
	v_or_b32_sdwa v2, v17, s68 dst_sel:DWORD dst_unused:UNUSED_PAD src0_sel:BYTE_3 src1_sel:DWORD
	v_cmp_eq_u64_e32 vcc, 0, v[10:11]
	v_cndmask_b32_e32 v1, v2, v1, vcc
; %bb.158:                              ;   in Loop: Header=BB0_114 Depth=3
	s_or_b64 exec, exec, s[18:19]
	v_lshrrev_b16_e32 v10, 8, v16
	v_cmp_ne_u16_e32 vcc, 0, v10
	v_mov_b32_e32 v2, 0
	v_mov_b32_e32 v17, 0
	s_and_saveexec_b64 s[18:19], vcc
	s_cbranch_execz .LBB0_166
; %bb.159:                              ;   in Loop: Header=BB0_114 Depth=3
	v_cmp_ne_u16_e32 vcc, s66, v10
	v_bfrev_b32_e32 v17, 1
	s_and_saveexec_b64 s[48:49], vcc
	s_cbranch_execz .LBB0_165
; %bb.160:                              ;   in Loop: Header=BB0_114 Depth=3
	v_and_b32_e32 v11, 0x7c, v10
	v_and_b32_e32 v22, 3, v10
	v_cmp_ne_u32_e32 vcc, s64, v11
                                        ; implicit-def: $vgpr17
	s_and_saveexec_b64 s[50:51], vcc
	s_xor_b64 s[50:51], exec, s[50:51]
	s_cbranch_execz .LBB0_162
; %bb.161:                              ;   in Loop: Header=BB0_114 Depth=3
	v_ffbh_u32_e32 v23, v22
	v_min_u32_e32 v23, 32, v23
	v_mov_b32_e32 v11, v41
	v_subrev_u32_e32 v36, 29, v23
	v_bfe_u32 v17, v10, 2, 5
	v_lshlrev_b64 v[10:11], v36, v[10:11]
	v_sub_u32_e32 v11, 30, v23
	v_cmp_eq_u32_e32 vcc, 0, v17
	v_cndmask_b32_e32 v11, v17, v11, vcc
	v_and_b32_e32 v10, 3, v10
	v_lshlrev_b32_e32 v17, 16, v16
	v_lshl_add_u32 v11, v11, 23, v25
	v_cndmask_b32_e32 v10, v22, v10, vcc
	v_and_or_b32 v11, v17, s65, v11
	v_lshl_or_b32 v17, v10, 21, v11
                                        ; implicit-def: $vgpr22
.LBB0_162:                              ;   in Loop: Header=BB0_114 Depth=3
	s_andn2_saveexec_b64 s[50:51], s[50:51]
; %bb.163:                              ;   in Loop: Header=BB0_114 Depth=3
	v_cmp_lt_i16_e32 vcc, -1, v16
	v_cndmask_b32_e32 v10, v47, v6, vcc
	v_cmp_eq_u32_e32 vcc, 0, v22
	v_cndmask_b32_e32 v17, v7, v10, vcc
; %bb.164:                              ;   in Loop: Header=BB0_114 Depth=3
	s_or_b64 exec, exec, s[50:51]
.LBB0_165:                              ;   in Loop: Header=BB0_114 Depth=3
	s_or_b64 exec, exec, s[48:49]
.LBB0_166:                              ;   in Loop: Header=BB0_114 Depth=3
	s_or_b64 exec, exec, s[18:19]
	v_lshrrev_b16_e32 v10, 8, v40
	v_cmp_ne_u16_e32 vcc, 0, v10
	s_and_saveexec_b64 s[18:19], vcc
	s_cbranch_execz .LBB0_174
; %bb.167:                              ;   in Loop: Header=BB0_114 Depth=3
	v_cmp_ne_u16_e32 vcc, s66, v10
	v_bfrev_b32_e32 v2, 1
	s_and_saveexec_b64 s[48:49], vcc
	s_cbranch_execz .LBB0_173
; %bb.168:                              ;   in Loop: Header=BB0_114 Depth=3
	v_and_b32_e32 v2, 0x7c, v10
	v_and_b32_e32 v22, 3, v10
	v_cmp_ne_u32_e32 vcc, s64, v2
                                        ; implicit-def: $vgpr2
	s_and_saveexec_b64 s[50:51], vcc
	s_xor_b64 s[50:51], exec, s[50:51]
	s_cbranch_execz .LBB0_170
; %bb.169:                              ;   in Loop: Header=BB0_114 Depth=3
	v_ffbh_u32_e32 v23, v22
	v_min_u32_e32 v23, 32, v23
	v_mov_b32_e32 v11, v41
	v_subrev_u32_e32 v36, 29, v23
	v_bfe_u32 v2, v10, 2, 5
	v_lshlrev_b64 v[10:11], v36, v[10:11]
	v_sub_u32_e32 v11, 30, v23
	v_cmp_eq_u32_e32 vcc, 0, v2
	v_cndmask_b32_e32 v2, v2, v11, vcc
	v_and_b32_e32 v10, 3, v10
	v_lshlrev_b32_e32 v11, 16, v40
	v_lshl_add_u32 v2, v2, 23, v25
	v_cndmask_b32_e32 v10, v22, v10, vcc
	v_and_or_b32 v2, v11, s65, v2
	v_lshl_or_b32 v2, v10, 21, v2
                                        ; implicit-def: $vgpr22
.LBB0_170:                              ;   in Loop: Header=BB0_114 Depth=3
	s_andn2_saveexec_b64 s[50:51], s[50:51]
; %bb.171:                              ;   in Loop: Header=BB0_114 Depth=3
	v_cmp_lt_i16_e32 vcc, -1, v40
	v_cndmask_b32_e32 v2, v47, v6, vcc
	v_cmp_eq_u32_e32 vcc, 0, v22
	v_cndmask_b32_e32 v2, v7, v2, vcc
; %bb.172:                              ;   in Loop: Header=BB0_114 Depth=3
	s_or_b64 exec, exec, s[50:51]
.LBB0_173:                              ;   in Loop: Header=BB0_114 Depth=3
	s_or_b64 exec, exec, s[48:49]
.LBB0_174:                              ;   in Loop: Header=BB0_114 Depth=3
	s_or_b64 exec, exec, s[18:19]
	v_mul_f32_e32 v46, v17, v2
	v_and_b32_sdwa v2, v46, s66 dst_sel:DWORD dst_unused:UNUSED_PAD src0_sel:BYTE_3 src1_sel:DWORD
	v_and_b32_e32 v22, 0x7f800000, v46
	v_mov_b32_e32 v23, v41
	v_and_b32_e32 v10, 0x7fffff, v46
	v_mov_b32_e32 v11, v41
	v_or_b32_e32 v17, 0x7b, v2
	v_cmp_ne_u64_e32 vcc, s[38:39], v[22:23]
	s_and_saveexec_b64 s[18:19], vcc
	s_xor_b64 s[48:49], exec, s[18:19]
	s_cbranch_execz .LBB0_184
; %bb.175:                              ;   in Loop: Header=BB0_114 Depth=3
	v_and_b32_e32 v22, 0x7fffffff, v46
	v_mov_b32_e32 v23, v41
	v_cmp_gt_u64_e32 vcc, s[40:41], v[22:23]
	s_and_saveexec_b64 s[50:51], vcc
	s_cbranch_execz .LBB0_183
; %bb.176:                              ;   in Loop: Header=BB0_114 Depth=3
	v_cmp_ne_u32_e32 vcc, 0, v46
	v_mov_b32_e32 v17, 0
	s_and_saveexec_b64 s[52:53], vcc
	s_cbranch_execz .LBB0_182
; %bb.177:                              ;   in Loop: Header=BB0_114 Depth=3
	v_bfe_u32 v17, v46, 23, 8
	v_sub_u32_e32 v23, 0x71, v17
	v_cmp_gt_u32_e32 vcc, s67, v17
	v_cndmask_b32_e32 v23, 0, v23, vcc
	v_cmp_eq_u32_e32 vcc, 0, v17
	v_add_u32_e32 v22, 0xffffff81, v17
	v_cndmask_b32_e32 v46, v23, v55, vcc
	v_cndmask_b32_e32 v17, v22, v54, vcc
	v_add_u32_e32 v22, 21, v46
	v_or_b32_e32 v36, 0x800000, v10
	v_lshlrev_b64 v[22:23], v22, -1
	v_cndmask_b32_e32 v10, v36, v10, vcc
	v_not_b32_e32 v22, v22
	v_and_b32_e32 v36, v10, v22
	v_add_u32_e32 v22, 20, v46
	v_lshrrev_b64 v[10:11], v46, v[10:11]
	v_not_b32_e32 v23, v23
	v_lshlrev_b64 v[50:51], v22, 1
	v_lshrrev_b32_e32 v22, 23, v10
	v_and_b32_e32 v37, 0, v23
	v_add3_u32 v23, v46, v17, v22
	v_bfe_u32 v17, v10, 21, 1
	v_add_u32_e32 v17, -1, v17
	v_cmp_eq_u64_e32 vcc, v[36:37], v[50:51]
	v_cndmask_b32_e32 v17, 0, v17, vcc
	v_add_u32_e32 v17, v17, v10
	v_and_b32_e32 v17, 0x1fffff, v17
	v_add_co_u32_e32 v10, vcc, v17, v10
	v_add_u32_e32 v22, 14, v23
	v_addc_co_u32_e32 v11, vcc, 0, v11, vcc
	v_cmp_ne_u32_e32 vcc, 0, v22
                                        ; implicit-def: $vgpr17
	s_and_saveexec_b64 s[18:19], vcc
	s_xor_b64 s[18:19], exec, s[18:19]
; %bb.178:                              ;   in Loop: Header=BB0_114 Depth=3
	v_add_u32_e32 v17, 15, v23
	v_cmp_lt_u64_e32 vcc, s[42:43], v[10:11]
	v_cndmask_b32_e32 v17, v22, v17, vcc
	v_cndmask_b32_e64 v22, 0, 1, vcc
	v_lshrrev_b64 v[10:11], v22, v[10:11]
; %bb.179:                              ;   in Loop: Header=BB0_114 Depth=3
	s_andn2_saveexec_b64 s[18:19], s[18:19]
; %bb.180:                              ;   in Loop: Header=BB0_114 Depth=3
	v_bfe_u32 v17, v10, 23, 1
; %bb.181:                              ;   in Loop: Header=BB0_114 Depth=3
	s_or_b64 exec, exec, s[18:19]
	v_lshrrev_b64 v[10:11], 21, v[10:11]
	v_cmp_gt_i32_e32 vcc, 32, v17
	v_cndmask_b32_e32 v11, 0, v11, vcc
	v_cndmask_b32_e32 v10, 3, v10, vcc
	v_cmp_eq_u64_e64 s[18:19], 0, v[10:11]
	v_min_i32_e32 v11, 31, v17
	v_cmp_eq_u32_e32 vcc, 0, v17
	v_lshlrev_b32_e32 v11, 2, v11
	v_and_or_b32 v10, v10, 3, v11
	s_and_b64 s[18:19], vcc, s[18:19]
	v_cndmask_b32_e64 v10, v10, 0, s[18:19]
	v_or_b32_e32 v17, v10, v2
.LBB0_182:                              ;   in Loop: Header=BB0_114 Depth=3
	s_or_b64 exec, exec, s[52:53]
.LBB0_183:                              ;   in Loop: Header=BB0_114 Depth=3
	s_or_b64 exec, exec, s[50:51]
                                        ; implicit-def: $vgpr46
                                        ; implicit-def: $vgpr10_vgpr11
.LBB0_184:                              ;   in Loop: Header=BB0_114 Depth=3
	s_andn2_saveexec_b64 s[18:19], s[48:49]
; %bb.185:                              ;   in Loop: Header=BB0_114 Depth=3
	v_or_b32_sdwa v2, v46, s68 dst_sel:DWORD dst_unused:UNUSED_PAD src0_sel:BYTE_3 src1_sel:DWORD
	v_cmp_eq_u64_e32 vcc, 0, v[10:11]
	v_cndmask_b32_e32 v17, v2, v17, vcc
; %bb.186:                              ;   in Loop: Header=BB0_114 Depth=3
	s_or_b64 exec, exec, s[18:19]
	v_lshrrev_b32_e32 v2, 16, v16
	v_cmp_ne_u16_sdwa vcc, v2, v41 src0_sel:BYTE_0 src1_sel:DWORD
	v_mov_b32_e32 v11, 0
	v_mov_b32_e32 v10, 0
	s_and_saveexec_b64 s[18:19], vcc
	s_cbranch_execz .LBB0_194
; %bb.187:                              ;   in Loop: Header=BB0_114 Depth=3
	v_cmp_ne_u16_sdwa vcc, v2, s66 src0_sel:BYTE_0 src1_sel:DWORD
	v_bfrev_b32_e32 v10, 1
	s_and_saveexec_b64 s[48:49], vcc
	s_cbranch_execz .LBB0_193
; %bb.188:                              ;   in Loop: Header=BB0_114 Depth=3
	v_and_b32_e32 v10, 0x7c0000, v16
	v_bfe_u32 v46, v16, 16, 2
	v_cmp_ne_u32_e32 vcc, s69, v10
                                        ; implicit-def: $vgpr10
	s_and_saveexec_b64 s[50:51], vcc
	s_xor_b64 s[50:51], exec, s[50:51]
	s_cbranch_execz .LBB0_190
; %bb.189:                              ;   in Loop: Header=BB0_114 Depth=3
	v_ffbh_u32_e32 v22, v46
	v_min_u32_e32 v36, 32, v22
	v_bfe_u32 v10, v16, 18, 5
	v_subrev_u32_e32 v22, 29, v36
	v_lshlrev_b64 v[22:23], v22, v[2:3]
	v_sub_u32_e32 v2, 30, v36
	v_cmp_eq_u32_e32 vcc, 0, v10
	v_and_b32_e32 v22, 3, v22
	v_cndmask_b32_e32 v2, v10, v2, vcc
	v_cndmask_b32_e32 v10, v46, v22, vcc
	v_lshlrev_b32_e32 v22, 8, v16
	v_lshl_add_u32 v2, v2, 23, v25
	v_and_or_b32 v2, v22, s65, v2
	v_lshl_or_b32 v10, v10, 21, v2
                                        ; implicit-def: $vgpr46
                                        ; implicit-def: $vgpr2
.LBB0_190:                              ;   in Loop: Header=BB0_114 Depth=3
	s_andn2_saveexec_b64 s[50:51], s[50:51]
; %bb.191:                              ;   in Loop: Header=BB0_114 Depth=3
	v_cmp_gt_i16_sdwa vcc, sext(v2), v30 src0_sel:BYTE_0 src1_sel:DWORD
	v_cndmask_b32_e32 v2, v47, v6, vcc
	v_cmp_eq_u32_e32 vcc, 0, v46
	v_cndmask_b32_e32 v10, v7, v2, vcc
; %bb.192:                              ;   in Loop: Header=BB0_114 Depth=3
	s_or_b64 exec, exec, s[50:51]
.LBB0_193:                              ;   in Loop: Header=BB0_114 Depth=3
	s_or_b64 exec, exec, s[48:49]
.LBB0_194:                              ;   in Loop: Header=BB0_114 Depth=3
	s_or_b64 exec, exec, s[18:19]
	v_and_b32_sdwa v22, v40, s62 dst_sel:DWORD dst_unused:UNUSED_PAD src0_sel:WORD_1 src1_sel:DWORD
	v_lshrrev_b32_e32 v2, 16, v40
	v_cmp_ne_u16_e32 vcc, 0, v22
	s_and_saveexec_b64 s[18:19], vcc
	s_cbranch_execz .LBB0_202
; %bb.195:                              ;   in Loop: Header=BB0_114 Depth=3
	v_cmp_ne_u16_e32 vcc, s66, v22
	v_bfrev_b32_e32 v11, 1
	s_and_saveexec_b64 s[48:49], vcc
	s_cbranch_execz .LBB0_201
; %bb.196:                              ;   in Loop: Header=BB0_114 Depth=3
	v_and_b32_e32 v11, 0x7c0000, v40
	v_bfe_u32 v46, v40, 16, 2
	v_cmp_ne_u32_e32 vcc, s69, v11
                                        ; implicit-def: $vgpr11
	s_and_saveexec_b64 s[50:51], vcc
	s_xor_b64 s[50:51], exec, s[50:51]
	s_cbranch_execz .LBB0_198
; %bb.197:                              ;   in Loop: Header=BB0_114 Depth=3
	v_ffbh_u32_e32 v22, v46
	v_min_u32_e32 v36, 32, v22
	v_lshrrev_b32_e32 v2, 16, v40
	v_bfe_u32 v11, v40, 18, 5
	v_subrev_u32_e32 v22, 29, v36
	v_lshlrev_b64 v[22:23], v22, v[2:3]
	v_sub_u32_e32 v2, 30, v36
	v_cmp_eq_u32_e32 vcc, 0, v11
	v_and_b32_e32 v22, 3, v22
	v_cndmask_b32_e32 v2, v11, v2, vcc
	v_cndmask_b32_e32 v11, v46, v22, vcc
	v_lshlrev_b32_e32 v22, 8, v40
	v_lshl_add_u32 v2, v2, 23, v25
	v_and_or_b32 v2, v22, s65, v2
	v_lshl_or_b32 v11, v11, 21, v2
                                        ; implicit-def: $vgpr46
                                        ; implicit-def: $vgpr2
.LBB0_198:                              ;   in Loop: Header=BB0_114 Depth=3
	s_andn2_saveexec_b64 s[50:51], s[50:51]
; %bb.199:                              ;   in Loop: Header=BB0_114 Depth=3
	v_cmp_gt_i16_sdwa vcc, sext(v2), v30 src0_sel:BYTE_0 src1_sel:DWORD
	v_cndmask_b32_e32 v2, v47, v6, vcc
	v_cmp_eq_u32_e32 vcc, 0, v46
	v_cndmask_b32_e32 v11, v7, v2, vcc
; %bb.200:                              ;   in Loop: Header=BB0_114 Depth=3
	s_or_b64 exec, exec, s[50:51]
.LBB0_201:                              ;   in Loop: Header=BB0_114 Depth=3
	s_or_b64 exec, exec, s[48:49]
.LBB0_202:                              ;   in Loop: Header=BB0_114 Depth=3
	s_or_b64 exec, exec, s[18:19]
	v_mul_f32_e32 v46, v10, v11
	v_and_b32_sdwa v2, v46, s66 dst_sel:DWORD dst_unused:UNUSED_PAD src0_sel:BYTE_3 src1_sel:DWORD
	v_and_b32_e32 v22, 0x7f800000, v46
	v_mov_b32_e32 v23, v41
	v_and_b32_e32 v10, 0x7fffff, v46
	v_mov_b32_e32 v11, v41
	v_or_b32_e32 v61, 0x7b, v2
	v_cmp_ne_u64_e32 vcc, s[38:39], v[22:23]
	s_and_saveexec_b64 s[18:19], vcc
	s_xor_b64 s[48:49], exec, s[18:19]
	s_cbranch_execz .LBB0_212
; %bb.203:                              ;   in Loop: Header=BB0_114 Depth=3
	v_and_b32_e32 v22, 0x7fffffff, v46
	v_mov_b32_e32 v23, v41
	v_cmp_gt_u64_e32 vcc, s[40:41], v[22:23]
	s_and_saveexec_b64 s[50:51], vcc
	s_cbranch_execz .LBB0_211
; %bb.204:                              ;   in Loop: Header=BB0_114 Depth=3
	v_cmp_ne_u32_e32 vcc, 0, v46
	v_mov_b32_e32 v61, 0
	s_and_saveexec_b64 s[52:53], vcc
	s_cbranch_execz .LBB0_210
; %bb.205:                              ;   in Loop: Header=BB0_114 Depth=3
	v_bfe_u32 v22, v46, 23, 8
	v_sub_u32_e32 v36, 0x71, v22
	v_cmp_gt_u32_e32 vcc, s67, v22
	v_cndmask_b32_e32 v36, 0, v36, vcc
	v_cmp_eq_u32_e32 vcc, 0, v22
	v_cndmask_b32_e32 v61, v36, v55, vcc
	v_add_u32_e32 v23, 0xffffff81, v22
	v_add_u32_e32 v22, 21, v61
	v_or_b32_e32 v37, 0x800000, v10
	v_cndmask_b32_e32 v46, v23, v54, vcc
	v_lshlrev_b64 v[22:23], v22, -1
	v_cndmask_b32_e32 v10, v37, v10, vcc
	v_not_b32_e32 v22, v22
	v_and_b32_e32 v36, v10, v22
	v_add_u32_e32 v22, 20, v61
	v_lshrrev_b64 v[10:11], v61, v[10:11]
	v_not_b32_e32 v23, v23
	v_lshlrev_b64 v[50:51], v22, 1
	v_lshrrev_b32_e32 v22, 23, v10
	v_and_b32_e32 v37, 0, v23
	v_add3_u32 v23, v61, v46, v22
	v_bfe_u32 v46, v10, 21, 1
	v_add_u32_e32 v46, -1, v46
	v_cmp_eq_u64_e32 vcc, v[36:37], v[50:51]
	v_cndmask_b32_e32 v36, 0, v46, vcc
	v_add_u32_e32 v36, v36, v10
	v_and_b32_e32 v36, 0x1fffff, v36
	v_add_co_u32_e32 v10, vcc, v36, v10
	v_add_u32_e32 v22, 14, v23
	v_addc_co_u32_e32 v11, vcc, 0, v11, vcc
	v_cmp_ne_u32_e32 vcc, 0, v22
                                        ; implicit-def: $vgpr46
	s_and_saveexec_b64 s[18:19], vcc
	s_xor_b64 s[18:19], exec, s[18:19]
; %bb.206:                              ;   in Loop: Header=BB0_114 Depth=3
	v_add_u32_e32 v23, 15, v23
	v_cmp_lt_u64_e32 vcc, s[42:43], v[10:11]
	v_cndmask_b32_e32 v46, v22, v23, vcc
	v_cndmask_b32_e64 v22, 0, 1, vcc
	v_lshrrev_b64 v[10:11], v22, v[10:11]
; %bb.207:                              ;   in Loop: Header=BB0_114 Depth=3
	s_andn2_saveexec_b64 s[18:19], s[18:19]
; %bb.208:                              ;   in Loop: Header=BB0_114 Depth=3
	v_bfe_u32 v46, v10, 23, 1
; %bb.209:                              ;   in Loop: Header=BB0_114 Depth=3
	s_or_b64 exec, exec, s[18:19]
	v_lshrrev_b64 v[10:11], 21, v[10:11]
	v_cmp_gt_i32_e32 vcc, 32, v46
	v_cndmask_b32_e32 v11, 0, v11, vcc
	v_cndmask_b32_e32 v10, 3, v10, vcc
	v_cmp_eq_u64_e64 s[18:19], 0, v[10:11]
	v_min_i32_e32 v11, 31, v46
	v_cmp_eq_u32_e32 vcc, 0, v46
	v_lshlrev_b32_e32 v11, 2, v11
	v_and_or_b32 v10, v10, 3, v11
	s_and_b64 s[18:19], vcc, s[18:19]
	v_cndmask_b32_e64 v10, v10, 0, s[18:19]
	v_or_b32_e32 v61, v10, v2
.LBB0_210:                              ;   in Loop: Header=BB0_114 Depth=3
	s_or_b64 exec, exec, s[52:53]
.LBB0_211:                              ;   in Loop: Header=BB0_114 Depth=3
	s_or_b64 exec, exec, s[50:51]
                                        ; implicit-def: $vgpr46
                                        ; implicit-def: $vgpr10_vgpr11
.LBB0_212:                              ;   in Loop: Header=BB0_114 Depth=3
	s_andn2_saveexec_b64 s[18:19], s[48:49]
; %bb.213:                              ;   in Loop: Header=BB0_114 Depth=3
	v_or_b32_sdwa v2, v46, s68 dst_sel:DWORD dst_unused:UNUSED_PAD src0_sel:BYTE_3 src1_sel:DWORD
	v_cmp_eq_u64_e32 vcc, 0, v[10:11]
	v_cndmask_b32_e32 v61, v2, v61, vcc
; %bb.214:                              ;   in Loop: Header=BB0_114 Depth=3
	s_or_b64 exec, exec, s[18:19]
	v_cmp_lt_u32_e32 vcc, s37, v16
	v_mov_b32_e32 v10, 0
	v_mov_b32_e32 v11, 0
	s_and_saveexec_b64 s[18:19], vcc
	s_cbranch_execz .LBB0_222
; %bb.215:                              ;   in Loop: Header=BB0_114 Depth=3
	v_lshrrev_b32_e32 v2, 24, v16
	v_cmp_ne_u32_e32 vcc, s66, v2
	v_bfrev_b32_e32 v11, 1
	s_and_saveexec_b64 s[48:49], vcc
	s_cbranch_execz .LBB0_221
; %bb.216:                              ;   in Loop: Header=BB0_114 Depth=3
	v_and_b32_e32 v11, 0x7c000000, v16
	v_bfe_u32 v46, v16, 24, 2
	v_cmp_ne_u32_e32 vcc, s70, v11
                                        ; implicit-def: $vgpr11
	s_and_saveexec_b64 s[50:51], vcc
	s_xor_b64 s[50:51], exec, s[50:51]
	s_cbranch_execz .LBB0_218
; %bb.217:                              ;   in Loop: Header=BB0_114 Depth=3
	v_ffbh_u32_e32 v22, v46
	v_min_u32_e32 v36, 32, v22
	v_bfe_u32 v11, v16, 26, 5
	v_subrev_u32_e32 v22, 29, v36
	v_lshlrev_b64 v[22:23], v22, v[2:3]
	v_sub_u32_e32 v2, 30, v36
	v_cmp_eq_u32_e32 vcc, 0, v11
	v_cndmask_b32_e32 v2, v11, v2, vcc
	v_and_b32_e32 v22, 3, v22
	v_lshl_add_u32 v2, v2, 23, v25
	v_cndmask_b32_e32 v11, v46, v22, vcc
	v_and_or_b32 v2, v16, s65, v2
	v_lshl_or_b32 v11, v11, 21, v2
                                        ; implicit-def: $vgpr46
.LBB0_218:                              ;   in Loop: Header=BB0_114 Depth=3
	s_andn2_saveexec_b64 s[50:51], s[50:51]
; %bb.219:                              ;   in Loop: Header=BB0_114 Depth=3
	v_cmp_lt_i32_e32 vcc, -1, v16
	v_cndmask_b32_e32 v2, v47, v6, vcc
	v_cmp_eq_u32_e32 vcc, 0, v46
	v_cndmask_b32_e32 v11, v7, v2, vcc
; %bb.220:                              ;   in Loop: Header=BB0_114 Depth=3
	s_or_b64 exec, exec, s[50:51]
.LBB0_221:                              ;   in Loop: Header=BB0_114 Depth=3
	s_or_b64 exec, exec, s[48:49]
.LBB0_222:                              ;   in Loop: Header=BB0_114 Depth=3
	s_or_b64 exec, exec, s[18:19]
	v_cmp_lt_u32_e32 vcc, s37, v40
	s_and_saveexec_b64 s[18:19], vcc
	s_cbranch_execz .LBB0_230
; %bb.223:                              ;   in Loop: Header=BB0_114 Depth=3
	v_lshrrev_b32_e32 v2, 24, v40
	v_cmp_ne_u32_e32 vcc, s66, v2
	v_bfrev_b32_e32 v10, 1
	s_and_saveexec_b64 s[48:49], vcc
	s_cbranch_execz .LBB0_229
; %bb.224:                              ;   in Loop: Header=BB0_114 Depth=3
	v_and_b32_e32 v10, 0x7c000000, v40
	v_bfe_u32 v16, v40, 24, 2
	v_cmp_ne_u32_e32 vcc, s70, v10
                                        ; implicit-def: $vgpr10
	s_and_saveexec_b64 s[50:51], vcc
	s_xor_b64 s[50:51], exec, s[50:51]
	s_cbranch_execz .LBB0_226
; %bb.225:                              ;   in Loop: Header=BB0_114 Depth=3
	v_ffbh_u32_e32 v22, v16
	v_min_u32_e32 v36, 32, v22
	v_bfe_u32 v10, v40, 26, 5
	v_subrev_u32_e32 v22, 29, v36
	v_lshlrev_b64 v[22:23], v22, v[2:3]
	v_sub_u32_e32 v2, 30, v36
	v_cmp_eq_u32_e32 vcc, 0, v10
	v_cndmask_b32_e32 v2, v10, v2, vcc
	v_and_b32_e32 v22, 3, v22
	v_lshl_add_u32 v2, v2, 23, v25
	v_cndmask_b32_e32 v10, v16, v22, vcc
	v_and_or_b32 v2, v40, s65, v2
	v_lshl_or_b32 v10, v10, 21, v2
                                        ; implicit-def: $vgpr16
.LBB0_226:                              ;   in Loop: Header=BB0_114 Depth=3
	s_andn2_saveexec_b64 s[50:51], s[50:51]
; %bb.227:                              ;   in Loop: Header=BB0_114 Depth=3
	v_cmp_lt_i32_e32 vcc, -1, v40
	v_cndmask_b32_e32 v2, v47, v6, vcc
	v_cmp_eq_u32_e32 vcc, 0, v16
	v_cndmask_b32_e32 v10, v7, v2, vcc
; %bb.228:                              ;   in Loop: Header=BB0_114 Depth=3
	s_or_b64 exec, exec, s[50:51]
.LBB0_229:                              ;   in Loop: Header=BB0_114 Depth=3
	s_or_b64 exec, exec, s[48:49]
.LBB0_230:                              ;   in Loop: Header=BB0_114 Depth=3
	s_or_b64 exec, exec, s[18:19]
	v_mul_f32_e32 v10, v11, v10
	v_and_b32_sdwa v2, v10, s66 dst_sel:DWORD dst_unused:UNUSED_PAD src0_sel:BYTE_3 src1_sel:DWORD
	v_and_b32_e32 v22, 0x7f800000, v10
	v_mov_b32_e32 v23, v41
	v_and_b32_e32 v40, 0x7fffff, v10
	v_or_b32_e32 v16, 0x7b, v2
	v_cmp_ne_u64_e32 vcc, s[38:39], v[22:23]
	s_and_saveexec_b64 s[18:19], vcc
	s_xor_b64 s[48:49], exec, s[18:19]
	s_cbranch_execz .LBB0_240
; %bb.231:                              ;   in Loop: Header=BB0_114 Depth=3
	v_and_b32_e32 v22, 0x7fffffff, v10
	v_mov_b32_e32 v23, v41
	v_cmp_gt_u64_e32 vcc, s[40:41], v[22:23]
	s_and_saveexec_b64 s[50:51], vcc
	s_cbranch_execz .LBB0_239
; %bb.232:                              ;   in Loop: Header=BB0_114 Depth=3
	v_cmp_ne_u32_e32 vcc, 0, v10
	v_mov_b32_e32 v16, 0
	s_and_saveexec_b64 s[52:53], vcc
	s_cbranch_execz .LBB0_238
; %bb.233:                              ;   in Loop: Header=BB0_114 Depth=3
	v_bfe_u32 v10, v10, 23, 8
	v_sub_u32_e32 v16, 0x71, v10
	v_cmp_gt_u32_e32 vcc, s67, v10
	v_cndmask_b32_e32 v16, 0, v16, vcc
	v_cmp_eq_u32_e32 vcc, 0, v10
	v_or_b32_e32 v22, 0x800000, v40
	v_cndmask_b32_e32 v16, v16, v55, vcc
	v_add_u32_e32 v11, 0xffffff81, v10
	v_cndmask_b32_e32 v40, v22, v40, vcc
	v_add_u32_e32 v10, 21, v16
	v_cndmask_b32_e32 v23, v11, v54, vcc
	v_lshlrev_b64 v[10:11], v10, -1
	v_add_u32_e32 v22, 20, v16
	v_lshrrev_b64 v[50:51], v16, v[40:41]
	v_not_b32_e32 v11, v11
	v_not_b32_e32 v10, v10
	v_lshlrev_b64 v[36:37], v22, 1
	v_lshrrev_b32_e32 v22, 23, v50
	v_and_b32_e32 v11, 0, v11
	v_and_b32_e32 v10, v40, v10
	v_add3_u32 v23, v16, v23, v22
	v_bfe_u32 v16, v50, 21, 1
	v_add_u32_e32 v16, -1, v16
	v_cmp_eq_u64_e32 vcc, v[10:11], v[36:37]
	v_cndmask_b32_e32 v10, 0, v16, vcc
	v_add_u32_e32 v10, v10, v50
	v_and_b32_e32 v10, 0x1fffff, v10
	v_add_co_u32_e32 v10, vcc, v10, v50
	v_add_u32_e32 v22, 14, v23
	v_addc_co_u32_e32 v11, vcc, 0, v51, vcc
	v_cmp_ne_u32_e32 vcc, 0, v22
                                        ; implicit-def: $vgpr16
	s_and_saveexec_b64 s[18:19], vcc
	s_xor_b64 s[18:19], exec, s[18:19]
; %bb.234:                              ;   in Loop: Header=BB0_114 Depth=3
	v_add_u32_e32 v16, 15, v23
	v_cmp_lt_u64_e32 vcc, s[42:43], v[10:11]
	v_cndmask_b32_e32 v16, v22, v16, vcc
	v_cndmask_b32_e64 v22, 0, 1, vcc
	v_lshrrev_b64 v[10:11], v22, v[10:11]
; %bb.235:                              ;   in Loop: Header=BB0_114 Depth=3
	s_andn2_saveexec_b64 s[18:19], s[18:19]
; %bb.236:                              ;   in Loop: Header=BB0_114 Depth=3
	v_bfe_u32 v16, v10, 23, 1
; %bb.237:                              ;   in Loop: Header=BB0_114 Depth=3
	s_or_b64 exec, exec, s[18:19]
	v_lshrrev_b64 v[10:11], 21, v[10:11]
	v_cmp_gt_i32_e32 vcc, 32, v16
	v_cndmask_b32_e32 v11, 0, v11, vcc
	v_cndmask_b32_e32 v10, 3, v10, vcc
	v_cmp_eq_u64_e64 s[18:19], 0, v[10:11]
	v_min_i32_e32 v11, 31, v16
	v_cmp_eq_u32_e32 vcc, 0, v16
	v_lshlrev_b32_e32 v11, 2, v11
	v_and_or_b32 v10, v10, 3, v11
	s_and_b64 s[18:19], vcc, s[18:19]
	v_cndmask_b32_e64 v10, v10, 0, s[18:19]
	v_or_b32_e32 v16, v10, v2
.LBB0_238:                              ;   in Loop: Header=BB0_114 Depth=3
	s_or_b64 exec, exec, s[52:53]
.LBB0_239:                              ;   in Loop: Header=BB0_114 Depth=3
	s_or_b64 exec, exec, s[50:51]
                                        ; implicit-def: $vgpr10
.LBB0_240:                              ;   in Loop: Header=BB0_114 Depth=3
	s_andn2_saveexec_b64 s[18:19], s[48:49]
; %bb.241:                              ;   in Loop: Header=BB0_114 Depth=3
	v_or_b32_sdwa v2, v10, s68 dst_sel:DWORD dst_unused:UNUSED_PAD src0_sel:BYTE_3 src1_sel:DWORD
	v_cmp_eq_u64_e32 vcc, 0, v[40:41]
	v_cndmask_b32_e32 v16, v2, v16, vcc
; %bb.242:                              ;   in Loop: Header=BB0_114 Depth=3
	s_or_b64 exec, exec, s[18:19]
	v_cmp_ne_u16_sdwa vcc, v18, v41 src0_sel:BYTE_0 src1_sel:DWORD
	v_mov_b32_e32 v2, 0
	v_mov_b32_e32 v10, 0
	s_and_saveexec_b64 s[18:19], vcc
	s_cbranch_execz .LBB0_250
; %bb.243:                              ;   in Loop: Header=BB0_114 Depth=3
	v_cmp_ne_u16_sdwa vcc, sext(v18), s63 src0_sel:BYTE_0 src1_sel:DWORD
	v_bfrev_b32_e32 v10, 1
	s_and_saveexec_b64 s[48:49], vcc
	s_cbranch_execz .LBB0_249
; %bb.244:                              ;   in Loop: Header=BB0_114 Depth=3
	v_and_b32_e32 v10, 0x7c, v18
	v_and_b32_e32 v11, 3, v18
	v_cmp_ne_u32_e32 vcc, s64, v10
                                        ; implicit-def: $vgpr10
	s_and_saveexec_b64 s[50:51], vcc
	s_xor_b64 s[50:51], exec, s[50:51]
	s_cbranch_execz .LBB0_246
; %bb.245:                              ;   in Loop: Header=BB0_114 Depth=3
	v_ffbh_u32_e32 v22, v11
	v_min_u32_e32 v36, 32, v22
	v_bfe_u32 v10, v18, 2, 5
	v_subrev_u32_e32 v22, 29, v36
	v_lshlrev_b64 v[22:23], v22, v[18:19]
	v_sub_u32_e32 v19, 30, v36
	v_cmp_eq_u32_e32 vcc, 0, v10
	v_cndmask_b32_e32 v10, v10, v19, vcc
	v_and_b32_e32 v22, 3, v22
	v_lshlrev_b32_e32 v19, 24, v18
	v_lshl_add_u32 v10, v10, 23, v25
	v_cndmask_b32_e32 v11, v11, v22, vcc
	v_and_or_b32 v10, v19, s65, v10
	v_lshl_or_b32 v10, v11, 21, v10
                                        ; implicit-def: $vgpr11
.LBB0_246:                              ;   in Loop: Header=BB0_114 Depth=3
	s_andn2_saveexec_b64 s[50:51], s[50:51]
; %bb.247:                              ;   in Loop: Header=BB0_114 Depth=3
	v_cmp_gt_i16_sdwa vcc, sext(v18), v30 src0_sel:BYTE_0 src1_sel:DWORD
	v_cndmask_b32_e32 v10, v47, v6, vcc
	v_cmp_eq_u32_e32 vcc, 0, v11
	v_cndmask_b32_e32 v10, v7, v10, vcc
; %bb.248:                              ;   in Loop: Header=BB0_114 Depth=3
	s_or_b64 exec, exec, s[50:51]
.LBB0_249:                              ;   in Loop: Header=BB0_114 Depth=3
	s_or_b64 exec, exec, s[48:49]
.LBB0_250:                              ;   in Loop: Header=BB0_114 Depth=3
	s_or_b64 exec, exec, s[18:19]
	v_alignbit_b32 v40, v62, v26, v27
	v_cmp_ne_u16_sdwa vcc, v40, v41 src0_sel:BYTE_0 src1_sel:DWORD
	s_and_saveexec_b64 s[18:19], vcc
	s_cbranch_execz .LBB0_258
; %bb.251:                              ;   in Loop: Header=BB0_114 Depth=3
	v_cmp_ne_u16_sdwa vcc, sext(v40), s63 src0_sel:BYTE_0 src1_sel:DWORD
	v_bfrev_b32_e32 v2, 1
	s_and_saveexec_b64 s[48:49], vcc
	s_cbranch_execz .LBB0_257
; %bb.252:                              ;   in Loop: Header=BB0_114 Depth=3
	v_and_b32_e32 v2, 0x7c, v40
	v_and_b32_e32 v11, 3, v40
	v_cmp_ne_u32_e32 vcc, s64, v2
                                        ; implicit-def: $vgpr2
	s_and_saveexec_b64 s[50:51], vcc
	s_xor_b64 s[50:51], exec, s[50:51]
	s_cbranch_execz .LBB0_254
; %bb.253:                              ;   in Loop: Header=BB0_114 Depth=3
	v_ffbh_u32_e32 v19, v11
	v_bfe_u32 v2, v40, 2, 5
	v_min_u32_e32 v19, 32, v19
	v_subrev_u32_e32 v22, 29, v19
	v_sub_u32_e32 v19, 30, v19
	v_cmp_eq_u32_e32 vcc, 0, v2
	v_lshlrev_b64 v[22:23], v22, v[40:41]
	v_cndmask_b32_e32 v2, v2, v19, vcc
	v_and_b32_e32 v22, 3, v22
	v_lshlrev_b32_e32 v19, 24, v40
	v_lshl_add_u32 v2, v2, 23, v25
	v_cndmask_b32_e32 v11, v11, v22, vcc
	v_and_or_b32 v2, v19, s65, v2
	v_lshl_or_b32 v2, v11, 21, v2
                                        ; implicit-def: $vgpr11
.LBB0_254:                              ;   in Loop: Header=BB0_114 Depth=3
	s_andn2_saveexec_b64 s[50:51], s[50:51]
; %bb.255:                              ;   in Loop: Header=BB0_114 Depth=3
	v_cmp_gt_i16_sdwa vcc, sext(v40), v30 src0_sel:BYTE_0 src1_sel:DWORD
	v_cndmask_b32_e32 v2, v47, v6, vcc
	v_cmp_eq_u32_e32 vcc, 0, v11
	v_cndmask_b32_e32 v2, v7, v2, vcc
; %bb.256:                              ;   in Loop: Header=BB0_114 Depth=3
	s_or_b64 exec, exec, s[50:51]
.LBB0_257:                              ;   in Loop: Header=BB0_114 Depth=3
	s_or_b64 exec, exec, s[48:49]
.LBB0_258:                              ;   in Loop: Header=BB0_114 Depth=3
	s_or_b64 exec, exec, s[18:19]
	v_mul_f32_e32 v26, v10, v2
	v_and_b32_sdwa v2, v26, s66 dst_sel:DWORD dst_unused:UNUSED_PAD src0_sel:BYTE_3 src1_sel:DWORD
	v_and_b32_e32 v22, 0x7f800000, v26
	v_mov_b32_e32 v23, v41
	v_and_b32_e32 v10, 0x7fffff, v26
	v_mov_b32_e32 v11, v41
	v_or_b32_e32 v19, 0x7b, v2
	v_cmp_ne_u64_e32 vcc, s[38:39], v[22:23]
	s_and_saveexec_b64 s[18:19], vcc
	s_xor_b64 s[48:49], exec, s[18:19]
	s_cbranch_execz .LBB0_268
; %bb.259:                              ;   in Loop: Header=BB0_114 Depth=3
	v_and_b32_e32 v22, 0x7fffffff, v26
	v_mov_b32_e32 v23, v41
	v_cmp_gt_u64_e32 vcc, s[40:41], v[22:23]
	s_and_saveexec_b64 s[50:51], vcc
	s_cbranch_execz .LBB0_267
; %bb.260:                              ;   in Loop: Header=BB0_114 Depth=3
	v_cmp_ne_u32_e32 vcc, 0, v26
	v_mov_b32_e32 v19, 0
	s_and_saveexec_b64 s[52:53], vcc
	s_cbranch_execz .LBB0_266
; %bb.261:                              ;   in Loop: Header=BB0_114 Depth=3
	v_bfe_u32 v19, v26, 23, 8
	v_sub_u32_e32 v23, 0x71, v19
	v_cmp_gt_u32_e32 vcc, s67, v19
	v_cndmask_b32_e32 v23, 0, v23, vcc
	v_cmp_eq_u32_e32 vcc, 0, v19
	v_add_u32_e32 v22, 0xffffff81, v19
	v_cndmask_b32_e32 v50, v23, v55, vcc
	v_cndmask_b32_e32 v19, v22, v54, vcc
	v_add_u32_e32 v22, 21, v50
	v_or_b32_e32 v26, 0x800000, v10
	v_lshlrev_b64 v[22:23], v22, -1
	v_cndmask_b32_e32 v10, v26, v10, vcc
	v_not_b32_e32 v22, v22
	v_and_b32_e32 v26, v10, v22
	v_add_u32_e32 v22, 20, v50
	v_lshrrev_b64 v[10:11], v50, v[10:11]
	v_not_b32_e32 v23, v23
	v_lshlrev_b64 v[36:37], v22, 1
	v_lshrrev_b32_e32 v22, 23, v10
	v_and_b32_e32 v27, 0, v23
	v_add3_u32 v23, v50, v19, v22
	v_bfe_u32 v19, v10, 21, 1
	v_add_u32_e32 v19, -1, v19
	v_cmp_eq_u64_e32 vcc, v[26:27], v[36:37]
	v_cndmask_b32_e32 v19, 0, v19, vcc
	v_add_u32_e32 v19, v19, v10
	v_and_b32_e32 v19, 0x1fffff, v19
	v_add_co_u32_e32 v10, vcc, v19, v10
	v_add_u32_e32 v22, 14, v23
	v_addc_co_u32_e32 v11, vcc, 0, v11, vcc
	v_cmp_ne_u32_e32 vcc, 0, v22
                                        ; implicit-def: $vgpr19
	s_and_saveexec_b64 s[18:19], vcc
	s_xor_b64 s[18:19], exec, s[18:19]
; %bb.262:                              ;   in Loop: Header=BB0_114 Depth=3
	v_add_u32_e32 v19, 15, v23
	v_cmp_lt_u64_e32 vcc, s[42:43], v[10:11]
	v_cndmask_b32_e32 v19, v22, v19, vcc
	v_cndmask_b32_e64 v22, 0, 1, vcc
	v_lshrrev_b64 v[10:11], v22, v[10:11]
; %bb.263:                              ;   in Loop: Header=BB0_114 Depth=3
	s_andn2_saveexec_b64 s[18:19], s[18:19]
; %bb.264:                              ;   in Loop: Header=BB0_114 Depth=3
	v_bfe_u32 v19, v10, 23, 1
; %bb.265:                              ;   in Loop: Header=BB0_114 Depth=3
	s_or_b64 exec, exec, s[18:19]
	v_lshrrev_b64 v[10:11], 21, v[10:11]
	v_cmp_gt_i32_e32 vcc, 32, v19
	v_cndmask_b32_e32 v11, 0, v11, vcc
	v_cndmask_b32_e32 v10, 3, v10, vcc
	v_cmp_eq_u64_e64 s[18:19], 0, v[10:11]
	v_min_i32_e32 v11, 31, v19
	v_cmp_eq_u32_e32 vcc, 0, v19
	v_lshlrev_b32_e32 v11, 2, v11
	v_and_or_b32 v10, v10, 3, v11
	s_and_b64 s[18:19], vcc, s[18:19]
	v_cndmask_b32_e64 v10, v10, 0, s[18:19]
	v_or_b32_e32 v19, v10, v2
.LBB0_266:                              ;   in Loop: Header=BB0_114 Depth=3
	s_or_b64 exec, exec, s[52:53]
.LBB0_267:                              ;   in Loop: Header=BB0_114 Depth=3
	s_or_b64 exec, exec, s[50:51]
                                        ; implicit-def: $vgpr26
                                        ; implicit-def: $vgpr10_vgpr11
.LBB0_268:                              ;   in Loop: Header=BB0_114 Depth=3
	s_andn2_saveexec_b64 s[18:19], s[48:49]
; %bb.269:                              ;   in Loop: Header=BB0_114 Depth=3
	v_or_b32_sdwa v2, v26, s68 dst_sel:DWORD dst_unused:UNUSED_PAD src0_sel:BYTE_3 src1_sel:DWORD
	v_cmp_eq_u64_e32 vcc, 0, v[10:11]
	v_cndmask_b32_e32 v19, v2, v19, vcc
; %bb.270:                              ;   in Loop: Header=BB0_114 Depth=3
	s_or_b64 exec, exec, s[18:19]
	v_lshrrev_b16_e32 v10, 8, v18
	v_cmp_ne_u16_e32 vcc, 0, v10
	v_mov_b32_e32 v2, 0
	v_mov_b32_e32 v26, 0
	s_and_saveexec_b64 s[18:19], vcc
	s_cbranch_execz .LBB0_278
; %bb.271:                              ;   in Loop: Header=BB0_114 Depth=3
	v_cmp_ne_u16_e32 vcc, s66, v10
	v_bfrev_b32_e32 v26, 1
	s_and_saveexec_b64 s[48:49], vcc
	s_cbranch_execz .LBB0_277
; %bb.272:                              ;   in Loop: Header=BB0_114 Depth=3
	v_and_b32_e32 v11, 0x7c, v10
	v_and_b32_e32 v22, 3, v10
	v_cmp_ne_u32_e32 vcc, s64, v11
                                        ; implicit-def: $vgpr26
	s_and_saveexec_b64 s[50:51], vcc
	s_xor_b64 s[50:51], exec, s[50:51]
	s_cbranch_execz .LBB0_274
; %bb.273:                              ;   in Loop: Header=BB0_114 Depth=3
	v_ffbh_u32_e32 v26, v22
	v_min_u32_e32 v26, 32, v26
	v_mov_b32_e32 v11, v41
	v_subrev_u32_e32 v27, 29, v26
	v_bfe_u32 v23, v10, 2, 5
	v_lshlrev_b64 v[10:11], v27, v[10:11]
	v_sub_u32_e32 v11, 30, v26
	v_cmp_eq_u32_e32 vcc, 0, v23
	v_and_b32_e32 v10, 3, v10
	v_cndmask_b32_e32 v11, v23, v11, vcc
	v_cndmask_b32_e32 v10, v22, v10, vcc
	v_lshlrev_b32_e32 v22, 16, v18
	v_lshl_add_u32 v11, v11, 23, v25
	v_and_or_b32 v11, v22, s65, v11
	v_lshl_or_b32 v26, v10, 21, v11
                                        ; implicit-def: $vgpr22
.LBB0_274:                              ;   in Loop: Header=BB0_114 Depth=3
	s_andn2_saveexec_b64 s[50:51], s[50:51]
; %bb.275:                              ;   in Loop: Header=BB0_114 Depth=3
	v_cmp_lt_i16_e32 vcc, -1, v18
	v_cndmask_b32_e32 v10, v47, v6, vcc
	v_cmp_eq_u32_e32 vcc, 0, v22
	v_cndmask_b32_e32 v26, v7, v10, vcc
; %bb.276:                              ;   in Loop: Header=BB0_114 Depth=3
	s_or_b64 exec, exec, s[50:51]
.LBB0_277:                              ;   in Loop: Header=BB0_114 Depth=3
	s_or_b64 exec, exec, s[48:49]
.LBB0_278:                              ;   in Loop: Header=BB0_114 Depth=3
	s_or_b64 exec, exec, s[18:19]
	v_lshrrev_b16_e32 v10, 8, v40
	v_cmp_ne_u16_e32 vcc, 0, v10
	s_and_saveexec_b64 s[18:19], vcc
	s_cbranch_execz .LBB0_286
; %bb.279:                              ;   in Loop: Header=BB0_114 Depth=3
	v_cmp_ne_u16_e32 vcc, s66, v10
	v_bfrev_b32_e32 v2, 1
	s_and_saveexec_b64 s[48:49], vcc
	s_cbranch_execz .LBB0_285
; %bb.280:                              ;   in Loop: Header=BB0_114 Depth=3
	v_and_b32_e32 v2, 0x7c, v10
	v_and_b32_e32 v22, 3, v10
	v_cmp_ne_u32_e32 vcc, s64, v2
                                        ; implicit-def: $vgpr2
	s_and_saveexec_b64 s[50:51], vcc
	s_xor_b64 s[50:51], exec, s[50:51]
	s_cbranch_execz .LBB0_282
; %bb.281:                              ;   in Loop: Header=BB0_114 Depth=3
	v_ffbh_u32_e32 v23, v22
	v_min_u32_e32 v23, 32, v23
	v_mov_b32_e32 v11, v41
	v_subrev_u32_e32 v27, 29, v23
	v_bfe_u32 v2, v10, 2, 5
	v_lshlrev_b64 v[10:11], v27, v[10:11]
	v_sub_u32_e32 v11, 30, v23
	v_cmp_eq_u32_e32 vcc, 0, v2
	v_cndmask_b32_e32 v2, v2, v11, vcc
	v_and_b32_e32 v10, 3, v10
	v_lshlrev_b32_e32 v11, 16, v40
	v_lshl_add_u32 v2, v2, 23, v25
	v_cndmask_b32_e32 v10, v22, v10, vcc
	v_and_or_b32 v2, v11, s65, v2
	v_lshl_or_b32 v2, v10, 21, v2
                                        ; implicit-def: $vgpr22
.LBB0_282:                              ;   in Loop: Header=BB0_114 Depth=3
	s_andn2_saveexec_b64 s[50:51], s[50:51]
; %bb.283:                              ;   in Loop: Header=BB0_114 Depth=3
	v_cmp_lt_i16_e32 vcc, -1, v40
	v_cndmask_b32_e32 v2, v47, v6, vcc
	v_cmp_eq_u32_e32 vcc, 0, v22
	v_cndmask_b32_e32 v2, v7, v2, vcc
; %bb.284:                              ;   in Loop: Header=BB0_114 Depth=3
	s_or_b64 exec, exec, s[50:51]
.LBB0_285:                              ;   in Loop: Header=BB0_114 Depth=3
	s_or_b64 exec, exec, s[48:49]
.LBB0_286:                              ;   in Loop: Header=BB0_114 Depth=3
	s_or_b64 exec, exec, s[18:19]
	v_mul_f32_e32 v27, v26, v2
	v_and_b32_sdwa v2, v27, s66 dst_sel:DWORD dst_unused:UNUSED_PAD src0_sel:BYTE_3 src1_sel:DWORD
	v_and_b32_e32 v22, 0x7f800000, v27
	v_mov_b32_e32 v23, v41
	v_and_b32_e32 v10, 0x7fffff, v27
	v_mov_b32_e32 v11, v41
	v_or_b32_e32 v26, 0x7b, v2
	v_cmp_ne_u64_e32 vcc, s[38:39], v[22:23]
	s_and_saveexec_b64 s[18:19], vcc
	s_xor_b64 s[48:49], exec, s[18:19]
	s_cbranch_execz .LBB0_296
; %bb.287:                              ;   in Loop: Header=BB0_114 Depth=3
	v_and_b32_e32 v22, 0x7fffffff, v27
	v_mov_b32_e32 v23, v41
	v_cmp_gt_u64_e32 vcc, s[40:41], v[22:23]
	s_and_saveexec_b64 s[50:51], vcc
	s_cbranch_execz .LBB0_295
; %bb.288:                              ;   in Loop: Header=BB0_114 Depth=3
	v_cmp_ne_u32_e32 vcc, 0, v27
	v_mov_b32_e32 v26, 0
	s_and_saveexec_b64 s[52:53], vcc
	s_cbranch_execz .LBB0_294
; %bb.289:                              ;   in Loop: Header=BB0_114 Depth=3
	v_bfe_u32 v22, v27, 23, 8
	v_sub_u32_e32 v26, 0x71, v22
	v_cmp_gt_u32_e32 vcc, s67, v22
	v_cndmask_b32_e32 v26, 0, v26, vcc
	v_cmp_eq_u32_e32 vcc, 0, v22
	v_cndmask_b32_e32 v51, v26, v55, vcc
	v_add_u32_e32 v23, 0xffffff81, v22
	v_add_u32_e32 v22, 21, v51
	v_or_b32_e32 v27, 0x800000, v10
	v_cndmask_b32_e32 v50, v23, v54, vcc
	v_lshlrev_b64 v[22:23], v22, -1
	v_cndmask_b32_e32 v10, v27, v10, vcc
	v_not_b32_e32 v22, v22
	v_and_b32_e32 v26, v10, v22
	v_add_u32_e32 v22, 20, v51
	v_lshrrev_b64 v[10:11], v51, v[10:11]
	v_not_b32_e32 v23, v23
	v_lshlrev_b64 v[36:37], v22, 1
	v_lshrrev_b32_e32 v22, 23, v10
	v_and_b32_e32 v27, 0, v23
	v_add3_u32 v23, v51, v50, v22
	v_bfe_u32 v50, v10, 21, 1
	v_add_u32_e32 v50, -1, v50
	v_cmp_eq_u64_e32 vcc, v[26:27], v[36:37]
	v_cndmask_b32_e32 v26, 0, v50, vcc
	v_add_u32_e32 v26, v26, v10
	v_and_b32_e32 v26, 0x1fffff, v26
	v_add_co_u32_e32 v10, vcc, v26, v10
	v_add_u32_e32 v22, 14, v23
	v_addc_co_u32_e32 v11, vcc, 0, v11, vcc
	v_cmp_ne_u32_e32 vcc, 0, v22
                                        ; implicit-def: $vgpr26
	s_and_saveexec_b64 s[18:19], vcc
	s_xor_b64 s[18:19], exec, s[18:19]
; %bb.290:                              ;   in Loop: Header=BB0_114 Depth=3
	v_add_u32_e32 v23, 15, v23
	v_cmp_lt_u64_e32 vcc, s[42:43], v[10:11]
	v_cndmask_b32_e32 v26, v22, v23, vcc
	v_cndmask_b32_e64 v22, 0, 1, vcc
	v_lshrrev_b64 v[10:11], v22, v[10:11]
; %bb.291:                              ;   in Loop: Header=BB0_114 Depth=3
	s_andn2_saveexec_b64 s[18:19], s[18:19]
; %bb.292:                              ;   in Loop: Header=BB0_114 Depth=3
	v_bfe_u32 v26, v10, 23, 1
; %bb.293:                              ;   in Loop: Header=BB0_114 Depth=3
	s_or_b64 exec, exec, s[18:19]
	v_lshrrev_b64 v[10:11], 21, v[10:11]
	v_cmp_gt_i32_e32 vcc, 32, v26
	v_cndmask_b32_e32 v11, 0, v11, vcc
	v_cndmask_b32_e32 v10, 3, v10, vcc
	v_cmp_eq_u64_e64 s[18:19], 0, v[10:11]
	v_min_i32_e32 v11, 31, v26
	v_cmp_eq_u32_e32 vcc, 0, v26
	v_lshlrev_b32_e32 v11, 2, v11
	v_and_or_b32 v10, v10, 3, v11
	s_and_b64 s[18:19], vcc, s[18:19]
	v_cndmask_b32_e64 v10, v10, 0, s[18:19]
	v_or_b32_e32 v26, v10, v2
.LBB0_294:                              ;   in Loop: Header=BB0_114 Depth=3
	s_or_b64 exec, exec, s[52:53]
.LBB0_295:                              ;   in Loop: Header=BB0_114 Depth=3
	s_or_b64 exec, exec, s[50:51]
                                        ; implicit-def: $vgpr27
                                        ; implicit-def: $vgpr10_vgpr11
.LBB0_296:                              ;   in Loop: Header=BB0_114 Depth=3
	s_andn2_saveexec_b64 s[18:19], s[48:49]
; %bb.297:                              ;   in Loop: Header=BB0_114 Depth=3
	v_or_b32_sdwa v2, v27, s68 dst_sel:DWORD dst_unused:UNUSED_PAD src0_sel:BYTE_3 src1_sel:DWORD
	v_cmp_eq_u64_e32 vcc, 0, v[10:11]
	v_cndmask_b32_e32 v26, v2, v26, vcc
; %bb.298:                              ;   in Loop: Header=BB0_114 Depth=3
	s_or_b64 exec, exec, s[18:19]
	v_lshrrev_b32_e32 v2, 16, v18
	v_cmp_ne_u16_sdwa vcc, v2, v41 src0_sel:BYTE_0 src1_sel:DWORD
	v_mov_b32_e32 v10, 0
	v_mov_b32_e32 v11, 0
	s_and_saveexec_b64 s[18:19], vcc
	s_cbranch_execz .LBB0_306
; %bb.299:                              ;   in Loop: Header=BB0_114 Depth=3
	v_cmp_ne_u16_sdwa vcc, v2, s66 src0_sel:BYTE_0 src1_sel:DWORD
	v_bfrev_b32_e32 v11, 1
	s_and_saveexec_b64 s[48:49], vcc
	s_cbranch_execz .LBB0_305
; %bb.300:                              ;   in Loop: Header=BB0_114 Depth=3
	v_and_b32_e32 v11, 0x7c0000, v18
	v_bfe_u32 v27, v18, 16, 2
	v_cmp_ne_u32_e32 vcc, s69, v11
                                        ; implicit-def: $vgpr11
	s_and_saveexec_b64 s[50:51], vcc
	s_xor_b64 s[50:51], exec, s[50:51]
	s_cbranch_execz .LBB0_302
; %bb.301:                              ;   in Loop: Header=BB0_114 Depth=3
	v_ffbh_u32_e32 v22, v27
	v_min_u32_e32 v36, 32, v22
	v_bfe_u32 v11, v18, 18, 5
	v_subrev_u32_e32 v22, 29, v36
	v_lshlrev_b64 v[22:23], v22, v[2:3]
	v_sub_u32_e32 v2, 30, v36
	v_cmp_eq_u32_e32 vcc, 0, v11
	v_and_b32_e32 v22, 3, v22
	v_cndmask_b32_e32 v2, v11, v2, vcc
	v_cndmask_b32_e32 v11, v27, v22, vcc
	v_lshlrev_b32_e32 v22, 8, v18
	v_lshl_add_u32 v2, v2, 23, v25
	v_and_or_b32 v2, v22, s65, v2
	v_lshl_or_b32 v11, v11, 21, v2
                                        ; implicit-def: $vgpr27
                                        ; implicit-def: $vgpr2
.LBB0_302:                              ;   in Loop: Header=BB0_114 Depth=3
	s_andn2_saveexec_b64 s[50:51], s[50:51]
; %bb.303:                              ;   in Loop: Header=BB0_114 Depth=3
	v_cmp_gt_i16_sdwa vcc, sext(v2), v30 src0_sel:BYTE_0 src1_sel:DWORD
	v_cndmask_b32_e32 v2, v47, v6, vcc
	v_cmp_eq_u32_e32 vcc, 0, v27
	v_cndmask_b32_e32 v11, v7, v2, vcc
; %bb.304:                              ;   in Loop: Header=BB0_114 Depth=3
	s_or_b64 exec, exec, s[50:51]
.LBB0_305:                              ;   in Loop: Header=BB0_114 Depth=3
	s_or_b64 exec, exec, s[48:49]
.LBB0_306:                              ;   in Loop: Header=BB0_114 Depth=3
	s_or_b64 exec, exec, s[18:19]
	v_and_b32_sdwa v22, v40, s62 dst_sel:DWORD dst_unused:UNUSED_PAD src0_sel:WORD_1 src1_sel:DWORD
	v_lshrrev_b32_e32 v2, 16, v40
	v_cmp_ne_u16_e32 vcc, 0, v22
	s_and_saveexec_b64 s[18:19], vcc
	s_cbranch_execz .LBB0_314
; %bb.307:                              ;   in Loop: Header=BB0_114 Depth=3
	v_cmp_ne_u16_e32 vcc, s66, v22
	v_bfrev_b32_e32 v10, 1
	s_and_saveexec_b64 s[48:49], vcc
	s_cbranch_execz .LBB0_313
; %bb.308:                              ;   in Loop: Header=BB0_114 Depth=3
	v_and_b32_e32 v10, 0x7c0000, v40
	v_bfe_u32 v27, v40, 16, 2
	v_cmp_ne_u32_e32 vcc, s69, v10
                                        ; implicit-def: $vgpr10
	s_and_saveexec_b64 s[50:51], vcc
	s_xor_b64 s[50:51], exec, s[50:51]
	s_cbranch_execz .LBB0_310
; %bb.309:                              ;   in Loop: Header=BB0_114 Depth=3
	v_ffbh_u32_e32 v22, v27
	v_min_u32_e32 v36, 32, v22
	v_bfe_u32 v10, v40, 18, 5
	v_subrev_u32_e32 v22, 29, v36
	v_lshlrev_b64 v[22:23], v22, v[2:3]
	v_sub_u32_e32 v2, 30, v36
	v_cmp_eq_u32_e32 vcc, 0, v10
	v_and_b32_e32 v22, 3, v22
	v_cndmask_b32_e32 v2, v10, v2, vcc
	v_cndmask_b32_e32 v10, v27, v22, vcc
	v_lshlrev_b32_e32 v22, 8, v40
	v_lshl_add_u32 v2, v2, 23, v25
	v_and_or_b32 v2, v22, s65, v2
	v_lshl_or_b32 v10, v10, 21, v2
                                        ; implicit-def: $vgpr27
                                        ; implicit-def: $vgpr2
.LBB0_310:                              ;   in Loop: Header=BB0_114 Depth=3
	s_andn2_saveexec_b64 s[50:51], s[50:51]
; %bb.311:                              ;   in Loop: Header=BB0_114 Depth=3
	v_cmp_gt_i16_sdwa vcc, sext(v2), v30 src0_sel:BYTE_0 src1_sel:DWORD
	v_cndmask_b32_e32 v2, v47, v6, vcc
	v_cmp_eq_u32_e32 vcc, 0, v27
	v_cndmask_b32_e32 v10, v7, v2, vcc
; %bb.312:                              ;   in Loop: Header=BB0_114 Depth=3
	s_or_b64 exec, exec, s[50:51]
.LBB0_313:                              ;   in Loop: Header=BB0_114 Depth=3
	s_or_b64 exec, exec, s[48:49]
.LBB0_314:                              ;   in Loop: Header=BB0_114 Depth=3
	s_or_b64 exec, exec, s[18:19]
	v_mul_f32_e32 v46, v11, v10
	v_and_b32_sdwa v2, v46, s66 dst_sel:DWORD dst_unused:UNUSED_PAD src0_sel:BYTE_3 src1_sel:DWORD
	v_and_b32_e32 v22, 0x7f800000, v46
	v_mov_b32_e32 v23, v41
	v_and_b32_e32 v10, 0x7fffff, v46
	v_mov_b32_e32 v11, v41
	v_or_b32_e32 v27, 0x7b, v2
	v_cmp_ne_u64_e32 vcc, s[38:39], v[22:23]
	s_and_saveexec_b64 s[18:19], vcc
	s_xor_b64 s[48:49], exec, s[18:19]
	s_cbranch_execz .LBB0_324
; %bb.315:                              ;   in Loop: Header=BB0_114 Depth=3
	v_and_b32_e32 v22, 0x7fffffff, v46
	v_mov_b32_e32 v23, v41
	v_cmp_gt_u64_e32 vcc, s[40:41], v[22:23]
	s_and_saveexec_b64 s[50:51], vcc
	s_cbranch_execz .LBB0_323
; %bb.316:                              ;   in Loop: Header=BB0_114 Depth=3
	v_cmp_ne_u32_e32 vcc, 0, v46
	v_mov_b32_e32 v27, 0
	s_and_saveexec_b64 s[52:53], vcc
	s_cbranch_execz .LBB0_322
; %bb.317:                              ;   in Loop: Header=BB0_114 Depth=3
	v_bfe_u32 v22, v46, 23, 8
	v_sub_u32_e32 v27, 0x71, v22
	v_cmp_gt_u32_e32 vcc, s67, v22
	v_cndmask_b32_e32 v27, 0, v27, vcc
	v_cmp_eq_u32_e32 vcc, 0, v22
	v_cndmask_b32_e32 v27, v27, v55, vcc
	v_add_u32_e32 v23, 0xffffff81, v22
	v_add_u32_e32 v22, 21, v27
	v_or_b32_e32 v36, 0x800000, v10
	v_cndmask_b32_e32 v46, v23, v54, vcc
	v_lshlrev_b64 v[22:23], v22, -1
	v_cndmask_b32_e32 v10, v36, v10, vcc
	v_not_b32_e32 v22, v22
	v_and_b32_e32 v36, v10, v22
	v_add_u32_e32 v22, 20, v27
	v_lshrrev_b64 v[10:11], v27, v[10:11]
	v_not_b32_e32 v23, v23
	v_lshlrev_b64 v[50:51], v22, 1
	v_lshrrev_b32_e32 v22, 23, v10
	v_and_b32_e32 v37, 0, v23
	v_add3_u32 v23, v27, v46, v22
	v_bfe_u32 v27, v10, 21, 1
	v_add_u32_e32 v27, -1, v27
	v_cmp_eq_u64_e32 vcc, v[36:37], v[50:51]
	v_cndmask_b32_e32 v27, 0, v27, vcc
	v_add_u32_e32 v27, v27, v10
	v_and_b32_e32 v27, 0x1fffff, v27
	v_add_co_u32_e32 v10, vcc, v27, v10
	v_add_u32_e32 v22, 14, v23
	v_addc_co_u32_e32 v11, vcc, 0, v11, vcc
	v_cmp_ne_u32_e32 vcc, 0, v22
                                        ; implicit-def: $vgpr27
	s_and_saveexec_b64 s[18:19], vcc
	s_xor_b64 s[18:19], exec, s[18:19]
; %bb.318:                              ;   in Loop: Header=BB0_114 Depth=3
	v_add_u32_e32 v23, 15, v23
	v_cmp_lt_u64_e32 vcc, s[42:43], v[10:11]
	v_cndmask_b32_e32 v27, v22, v23, vcc
	v_cndmask_b32_e64 v22, 0, 1, vcc
	v_lshrrev_b64 v[10:11], v22, v[10:11]
; %bb.319:                              ;   in Loop: Header=BB0_114 Depth=3
	s_andn2_saveexec_b64 s[18:19], s[18:19]
; %bb.320:                              ;   in Loop: Header=BB0_114 Depth=3
	v_bfe_u32 v27, v10, 23, 1
; %bb.321:                              ;   in Loop: Header=BB0_114 Depth=3
	s_or_b64 exec, exec, s[18:19]
	v_lshrrev_b64 v[10:11], 21, v[10:11]
	v_cmp_gt_i32_e32 vcc, 32, v27
	v_cndmask_b32_e32 v11, 0, v11, vcc
	v_cndmask_b32_e32 v10, 3, v10, vcc
	v_cmp_eq_u64_e64 s[18:19], 0, v[10:11]
	v_min_i32_e32 v11, 31, v27
	v_lshlrev_b32_e32 v11, 2, v11
	v_cmp_eq_u32_e32 vcc, 0, v27
	v_and_b32_e32 v11, 0xfc, v11
	v_and_or_b32 v10, v10, 3, v11
	s_and_b64 s[18:19], vcc, s[18:19]
	v_cndmask_b32_e64 v10, v10, 0, s[18:19]
	v_or_b32_e32 v27, v10, v2
.LBB0_322:                              ;   in Loop: Header=BB0_114 Depth=3
	s_or_b64 exec, exec, s[52:53]
.LBB0_323:                              ;   in Loop: Header=BB0_114 Depth=3
	s_or_b64 exec, exec, s[50:51]
                                        ; implicit-def: $vgpr46
                                        ; implicit-def: $vgpr10_vgpr11
.LBB0_324:                              ;   in Loop: Header=BB0_114 Depth=3
	s_andn2_saveexec_b64 s[18:19], s[48:49]
; %bb.325:                              ;   in Loop: Header=BB0_114 Depth=3
	v_or_b32_sdwa v2, v46, s68 dst_sel:DWORD dst_unused:UNUSED_PAD src0_sel:BYTE_3 src1_sel:DWORD
	v_cmp_eq_u64_e32 vcc, 0, v[10:11]
	v_cndmask_b32_e32 v27, v2, v27, vcc
; %bb.326:                              ;   in Loop: Header=BB0_114 Depth=3
	s_or_b64 exec, exec, s[18:19]
	v_mov_b32_e32 v10, v41
	v_mov_b32_e32 v11, v18
	v_cmp_lt_u64_e32 vcc, s[36:37], v[10:11]
	v_mov_b32_e32 v62, 0
	v_mov_b32_e32 v46, 0
	s_and_saveexec_b64 s[18:19], vcc
	s_cbranch_execz .LBB0_334
; %bb.327:                              ;   in Loop: Header=BB0_114 Depth=3
	v_lshrrev_b32_e32 v2, 24, v18
	v_cmp_ne_u32_e32 vcc, s66, v2
	v_bfrev_b32_e32 v46, 1
	s_and_saveexec_b64 s[48:49], vcc
	s_cbranch_execz .LBB0_333
; %bb.328:                              ;   in Loop: Header=BB0_114 Depth=3
	v_and_b32_e32 v23, 0x7c000000, v18
	v_bfe_u32 v22, v18, 24, 2
	v_cmp_ne_u32_e32 vcc, s70, v23
                                        ; implicit-def: $vgpr46
	s_and_saveexec_b64 s[50:51], vcc
	s_xor_b64 s[50:51], exec, s[50:51]
	s_cbranch_execz .LBB0_330
; %bb.329:                              ;   in Loop: Header=BB0_114 Depth=3
	v_ffbh_u32_e32 v10, v22
	v_min_u32_e32 v36, 32, v10
	v_bfe_u32 v23, v18, 26, 5
	v_subrev_u32_e32 v10, 29, v36
	v_lshlrev_b64 v[10:11], v10, v[2:3]
	v_sub_u32_e32 v2, 30, v36
	v_cmp_eq_u32_e32 vcc, 0, v23
	v_cndmask_b32_e32 v2, v23, v2, vcc
	v_and_b32_e32 v10, 3, v10
	v_lshl_add_u32 v2, v2, 23, v25
	v_cndmask_b32_e32 v10, v22, v10, vcc
	v_and_or_b32 v2, v18, s65, v2
	v_lshl_or_b32 v46, v10, 21, v2
                                        ; implicit-def: $vgpr22
                                        ; implicit-def: $vgpr10_vgpr11
.LBB0_330:                              ;   in Loop: Header=BB0_114 Depth=3
	s_andn2_saveexec_b64 s[50:51], s[50:51]
; %bb.331:                              ;   in Loop: Header=BB0_114 Depth=3
	v_cmp_lt_i64_e32 vcc, -1, v[10:11]
	v_cndmask_b32_e32 v2, v47, v6, vcc
	v_cmp_eq_u32_e32 vcc, 0, v22
	v_cndmask_b32_e32 v46, v7, v2, vcc
; %bb.332:                              ;   in Loop: Header=BB0_114 Depth=3
	s_or_b64 exec, exec, s[50:51]
.LBB0_333:                              ;   in Loop: Header=BB0_114 Depth=3
	s_or_b64 exec, exec, s[48:49]
.LBB0_334:                              ;   in Loop: Header=BB0_114 Depth=3
	s_or_b64 exec, exec, s[18:19]
	v_cmp_lt_u32_e32 vcc, s37, v40
	s_and_saveexec_b64 s[18:19], vcc
	s_cbranch_execz .LBB0_342
; %bb.335:                              ;   in Loop: Header=BB0_114 Depth=3
	v_lshrrev_b32_e32 v2, 24, v40
	v_cmp_ne_u32_e32 vcc, s66, v2
	v_bfrev_b32_e32 v62, 1
	s_and_saveexec_b64 s[48:49], vcc
	s_cbranch_execz .LBB0_341
; %bb.336:                              ;   in Loop: Header=BB0_114 Depth=3
	v_and_b32_e32 v11, 0x7c000000, v40
	v_bfe_u32 v10, v40, 24, 2
	v_cmp_ne_u32_e32 vcc, s70, v11
                                        ; implicit-def: $vgpr62
	s_and_saveexec_b64 s[50:51], vcc
	s_xor_b64 s[50:51], exec, s[50:51]
	s_cbranch_execz .LBB0_338
; %bb.337:                              ;   in Loop: Header=BB0_114 Depth=3
	v_ffbh_u32_e32 v18, v10
	v_min_u32_e32 v18, 32, v18
	v_bfe_u32 v11, v40, 26, 5
	v_subrev_u32_e32 v22, 29, v18
	v_lshlrev_b64 v[22:23], v22, v[2:3]
	v_sub_u32_e32 v2, 30, v18
	v_cmp_eq_u32_e32 vcc, 0, v11
	v_cndmask_b32_e32 v2, v11, v2, vcc
	v_and_b32_e32 v18, 3, v22
	v_lshl_add_u32 v2, v2, 23, v25
	v_cndmask_b32_e32 v10, v10, v18, vcc
	v_and_or_b32 v2, v40, s65, v2
	v_lshl_or_b32 v62, v10, 21, v2
                                        ; implicit-def: $vgpr10
.LBB0_338:                              ;   in Loop: Header=BB0_114 Depth=3
	s_andn2_saveexec_b64 s[50:51], s[50:51]
; %bb.339:                              ;   in Loop: Header=BB0_114 Depth=3
	v_cmp_lt_i32_e32 vcc, -1, v40
	v_cndmask_b32_e32 v2, v47, v6, vcc
	v_cmp_eq_u32_e32 vcc, 0, v10
	v_cndmask_b32_e32 v62, v7, v2, vcc
; %bb.340:                              ;   in Loop: Header=BB0_114 Depth=3
	s_or_b64 exec, exec, s[50:51]
.LBB0_341:                              ;   in Loop: Header=BB0_114 Depth=3
	s_or_b64 exec, exec, s[48:49]
.LBB0_342:                              ;   in Loop: Header=BB0_114 Depth=3
	s_or_b64 exec, exec, s[18:19]
	v_mul_f32_e32 v11, v46, v62
	v_and_b32_sdwa v2, v11, s66 dst_sel:DWORD dst_unused:UNUSED_PAD src0_sel:BYTE_3 src1_sel:DWORD
	v_and_b32_e32 v22, 0x7f800000, v11
	v_mov_b32_e32 v23, v41
	v_and_b32_e32 v40, 0x7fffff, v11
	v_or_b32_e32 v10, 0x7b, v2
	v_cmp_ne_u64_e32 vcc, s[38:39], v[22:23]
	s_and_saveexec_b64 s[18:19], vcc
	s_xor_b64 s[48:49], exec, s[18:19]
	s_cbranch_execz .LBB0_352
; %bb.343:                              ;   in Loop: Header=BB0_114 Depth=3
	v_and_b32_e32 v22, 0x7fffffff, v11
	v_mov_b32_e32 v23, v41
	v_cmp_gt_u64_e32 vcc, s[40:41], v[22:23]
	s_and_saveexec_b64 s[50:51], vcc
	s_cbranch_execz .LBB0_351
; %bb.344:                              ;   in Loop: Header=BB0_114 Depth=3
	v_cmp_ne_u32_e32 vcc, 0, v11
	v_mov_b32_e32 v10, 0
	s_and_saveexec_b64 s[52:53], vcc
	s_cbranch_execz .LBB0_350
; %bb.345:                              ;   in Loop: Header=BB0_114 Depth=3
	v_bfe_u32 v10, v11, 23, 8
	v_sub_u32_e32 v18, 0x71, v10
	v_cmp_gt_u32_e32 vcc, s67, v10
	v_cndmask_b32_e32 v18, 0, v18, vcc
	v_cmp_eq_u32_e32 vcc, 0, v10
	v_or_b32_e32 v22, 0x800000, v40
	v_cndmask_b32_e32 v18, v18, v55, vcc
	v_add_u32_e32 v11, 0xffffff81, v10
	v_cndmask_b32_e32 v40, v22, v40, vcc
	v_add_u32_e32 v10, 21, v18
	v_cndmask_b32_e32 v23, v11, v54, vcc
	v_lshlrev_b64 v[10:11], v10, -1
	v_add_u32_e32 v22, 20, v18
	v_lshrrev_b64 v[50:51], v18, v[40:41]
	v_not_b32_e32 v11, v11
	v_not_b32_e32 v10, v10
	v_lshlrev_b64 v[36:37], v22, 1
	v_lshrrev_b32_e32 v22, 23, v50
	v_and_b32_e32 v11, 0, v11
	v_and_b32_e32 v10, v40, v10
	v_add3_u32 v23, v18, v23, v22
	v_bfe_u32 v18, v50, 21, 1
	v_add_u32_e32 v18, -1, v18
	v_cmp_eq_u64_e32 vcc, v[10:11], v[36:37]
	v_cndmask_b32_e32 v10, 0, v18, vcc
	v_add_u32_e32 v10, v10, v50
	v_and_b32_e32 v10, 0x1fffff, v10
	v_add_co_u32_e32 v10, vcc, v10, v50
	v_add_u32_e32 v22, 14, v23
	v_addc_co_u32_e32 v11, vcc, 0, v51, vcc
	v_cmp_ne_u32_e32 vcc, 0, v22
                                        ; implicit-def: $vgpr18
	s_and_saveexec_b64 s[18:19], vcc
	s_xor_b64 s[18:19], exec, s[18:19]
; %bb.346:                              ;   in Loop: Header=BB0_114 Depth=3
	v_add_u32_e32 v18, 15, v23
	v_cmp_lt_u64_e32 vcc, s[42:43], v[10:11]
	v_cndmask_b32_e32 v18, v22, v18, vcc
	v_cndmask_b32_e64 v22, 0, 1, vcc
	v_lshrrev_b64 v[10:11], v22, v[10:11]
; %bb.347:                              ;   in Loop: Header=BB0_114 Depth=3
	s_andn2_saveexec_b64 s[18:19], s[18:19]
; %bb.348:                              ;   in Loop: Header=BB0_114 Depth=3
	v_bfe_u32 v18, v10, 23, 1
; %bb.349:                              ;   in Loop: Header=BB0_114 Depth=3
	s_or_b64 exec, exec, s[18:19]
	v_lshrrev_b64 v[10:11], 21, v[10:11]
	v_cmp_gt_i32_e32 vcc, 32, v18
	v_cndmask_b32_e32 v11, 0, v11, vcc
	v_cndmask_b32_e32 v10, 3, v10, vcc
	v_cmp_eq_u64_e64 s[18:19], 0, v[10:11]
	v_min_i32_e32 v11, 31, v18
	v_lshlrev_b32_e32 v11, 2, v11
	v_cmp_eq_u32_e32 vcc, 0, v18
	v_and_b32_e32 v11, 0xfc, v11
	v_and_or_b32 v10, v10, 3, v11
	s_and_b64 s[18:19], vcc, s[18:19]
	v_cndmask_b32_e64 v10, v10, 0, s[18:19]
	v_or_b32_e32 v10, v10, v2
.LBB0_350:                              ;   in Loop: Header=BB0_114 Depth=3
	s_or_b64 exec, exec, s[52:53]
.LBB0_351:                              ;   in Loop: Header=BB0_114 Depth=3
	s_or_b64 exec, exec, s[50:51]
                                        ; implicit-def: $vgpr11
.LBB0_352:                              ;   in Loop: Header=BB0_114 Depth=3
	s_andn2_saveexec_b64 s[18:19], s[48:49]
	s_cbranch_execz .LBB0_113
; %bb.353:                              ;   in Loop: Header=BB0_114 Depth=3
	v_or_b32_sdwa v2, v11, s68 dst_sel:DWORD dst_unused:UNUSED_PAD src0_sel:BYTE_3 src1_sel:DWORD
	v_cmp_eq_u64_e32 vcc, 0, v[40:41]
	v_cndmask_b32_e32 v10, v2, v10, vcc
	s_branch .LBB0_113
.LBB0_354:                              ;   in Loop: Header=BB0_70 Depth=2
	s_or_b64 exec, exec, s[46:47]
	v_accvgpr_read_b32 v33, a11
	v_accvgpr_read_b32 v8, a42
	;; [unrolled: 1-line block ×5, first 2 shown]
	s_or_b64 exec, exec, s[44:45]
	s_and_saveexec_b64 s[18:19], s[10:11]
	s_cbranch_execz .LBB0_74
.LBB0_355:                              ;   in Loop: Header=BB0_70 Depth=2
	s_and_saveexec_b64 vcc, s[28:29]
	s_xor_b64 s[44:45], exec, vcc
	s_cbranch_execz .LBB0_370
; %bb.356:                              ;   in Loop: Header=BB0_70 Depth=2
	s_and_saveexec_b64 s[46:47], s[12:13]
	s_cbranch_execz .LBB0_369
; %bb.357:                              ;   in Loop: Header=BB0_70 Depth=2
	s_mov_b64 s[50:51], exec
	v_mbcnt_lo_u32_b32 v1, s50, 0
	v_mbcnt_hi_u32_b32 v1, s51, v1
	v_cmp_eq_u32_e32 vcc, 0, v1
	s_waitcnt vmcnt(0) lgkmcnt(0)
	buffer_wbinvl1_vol
	s_and_saveexec_b64 s[48:49], vcc
	s_cbranch_execz .LBB0_359
; %bb.358:                              ;   in Loop: Header=BB0_70 Depth=2
	s_bcnt1_i32_b64 vcc_lo, s[50:51]
	v_mov_b32_e32 v40, vcc_lo
	ds_add_u64 v0, v[40:41]
	s_trap 2
.LBB0_359:                              ;   in Loop: Header=BB0_70 Depth=2
	s_or_b64 exec, exec, s[48:49]
	s_trap 2
	ds_read_b64 v[2:3], v0
	v_accvgpr_read_b32 v4, a30
	v_add_co_u32_e32 v42, vcc, v42, v4
	v_accvgpr_read_b32 v1, a41
	v_addc_co_u32_e32 v43, vcc, v43, v1, vcc
	s_waitcnt lgkmcnt(0)
	v_cmp_lt_u64_e32 vcc, v[2:3], v[42:43]
	s_and_saveexec_b64 s[48:49], vcc
	s_cbranch_execz .LBB0_368
; %bb.360:                              ;   in Loop: Header=BB0_70 Depth=2
	s_mov_b32 s76, 0
	s_mov_b64 s[50:51], 0
                                        ; implicit-def: $sgpr52_sgpr53
                                        ; implicit-def: $sgpr54_sgpr55
	s_branch .LBB0_362
.LBB0_361:                              ;   in Loop: Header=BB0_362 Depth=3
	s_or_b64 exec, exec, s[58:59]
	s_and_b64 vcc, exec, vcc
	s_or_b64 s[50:51], vcc, s[50:51]
	s_andn2_b64 vcc, s[52:53], exec
	s_and_b64 s[52:53], s[54:55], exec
	s_or_b64 s[52:53], vcc, s[52:53]
	s_andn2_b64 exec, exec, s[50:51]
	s_cbranch_execz .LBB0_366
.LBB0_362:                              ;   Parent Loop BB0_21 Depth=1
                                        ;     Parent Loop BB0_70 Depth=2
                                        ; =>    This Inner Loop Header: Depth=3
	s_add_i32 s76, s76, 1
	s_cmpk_lg_i32 s76, 0x2710
	s_cselect_b64 s[56:57], -1, 0
	s_and_b64 vcc, exec, s[56:57]
                                        ; implicit-def: $sgpr58_sgpr59
	s_cbranch_vccnz .LBB0_364
; %bb.363:                              ;   in Loop: Header=BB0_362 Depth=3
	s_trap 2
	ds_read_b64 v[2:3], v0
	s_andn2_b64 s[56:57], s[56:57], exec
	s_mov_b32 s76, 0
	s_mov_b64 s[58:59], -1
	s_waitcnt lgkmcnt(0)
	flat_load_dword v1, v[2:3] glc
	s_waitcnt vmcnt(0) lgkmcnt(0)
	buffer_invl2
	buffer_wbinvl1_vol
	v_cmp_eq_u32_e32 vcc, 0, v1
	s_and_b64 vcc, vcc, exec
	s_or_b64 s[56:57], s[56:57], vcc
.LBB0_364:                              ;   in Loop: Header=BB0_362 Depth=3
	s_andn2_b64 s[54:55], s[54:55], exec
	s_and_b64 s[58:59], s[58:59], exec
	s_mov_b64 vcc, -1
	s_or_b64 s[54:55], s[54:55], s[58:59]
	s_and_saveexec_b64 s[58:59], s[56:57]
	s_cbranch_execz .LBB0_361
; %bb.365:                              ;   in Loop: Header=BB0_362 Depth=3
	s_sleep 1
	s_trap 2
	ds_read_b64 v[2:3], v0
	s_andn2_b64 s[54:55], s[54:55], exec
	s_waitcnt lgkmcnt(0)
	v_cmp_ge_u64_e32 vcc, v[2:3], v[42:43]
	s_orn2_b64 vcc, vcc, exec
	s_branch .LBB0_361
.LBB0_366:                              ;   in Loop: Header=BB0_70 Depth=2
	s_or_b64 exec, exec, s[50:51]
	s_and_saveexec_b64 vcc, s[52:53]
	s_xor_b64 vcc, exec, vcc
	s_cbranch_execz .LBB0_368
; %bb.367:                              ;   in Loop: Header=BB0_70 Depth=2
	v_mov_b32_e32 v1, 1
	ds_write_b32 v0, v1
	s_trap 2
.LBB0_368:                              ;   in Loop: Header=BB0_70 Depth=2
	s_or_b64 exec, exec, s[48:49]
	;;#ASMSTART
	s_wakeup
	;;#ASMEND
.LBB0_369:                              ;   in Loop: Header=BB0_70 Depth=2
	s_or_b64 exec, exec, s[46:47]
.LBB0_370:                              ;   in Loop: Header=BB0_70 Depth=2
	s_andn2_saveexec_b64 vcc, s[44:45]
	s_cbranch_execz .LBB0_372
; %bb.371:                              ;   in Loop: Header=BB0_70 Depth=2
	s_waitcnt vmcnt(0) lgkmcnt(0)
	buffer_wbinvl1_vol
	s_barrier
.LBB0_372:                              ;   in Loop: Header=BB0_70 Depth=2
	s_or_b64 exec, exec, vcc
	s_or_b64 exec, exec, s[18:19]
	s_and_saveexec_b64 s[18:19], s[14:15]
	s_cbranch_execnz .LBB0_75
	s_branch .LBB0_76
.LBB0_373:                              ;   in Loop: Header=BB0_21 Depth=1
	v_accvgpr_write_b32 a46, v1
	v_accvgpr_write_b32 a45, v2
	v_pk_mov_b32 v[16:17], v[28:29], v[28:29] op_sel:[0,1]
	s_branch .LBB0_375
.LBB0_374:                              ;   in Loop: Header=BB0_21 Depth=1
	v_accvgpr_read_b32 v51, a5
	v_accvgpr_read_b32 v37, a25
	;; [unrolled: 1-line block ×3, first 2 shown]
	v_pk_mov_b32 v[16:17], v[28:29], v[28:29] op_sel:[0,1]
	v_accvgpr_read_b32 v50, a4
	v_accvgpr_read_b32 v36, a24
	;; [unrolled: 1-line block ×3, first 2 shown]
.LBB0_375:                              ;   in Loop: Header=BB0_21 Depth=1
	v_accvgpr_read_b32 v4, a45
	v_accvgpr_read_b32 v5, a46
; %bb.376:                              ;   in Loop: Header=BB0_21 Depth=1
	s_and_saveexec_b64 s[18:19], s[16:17]
	s_cbranch_execnz .LBB0_379
; %bb.377:                              ;   in Loop: Header=BB0_21 Depth=1
	s_or_b64 exec, exec, s[18:19]
	s_and_saveexec_b64 s[16:17], s[10:11]
	s_cbranch_execnz .LBB0_640
.LBB0_378:                              ;   in Loop: Header=BB0_21 Depth=1
	s_or_b64 exec, exec, s[16:17]
	s_and_saveexec_b64 s[16:17], s[14:15]
	s_cbranch_execz .LBB0_20
	s_branch .LBB0_658
.LBB0_379:                              ;   in Loop: Header=BB0_21 Depth=1
	v_accvgpr_read_b32 v0, a6
	v_accvgpr_read_b32 v1, a7
	flat_load_dword v8, v[0:1]
	s_waitcnt vmcnt(0) lgkmcnt(0)
	v_accvgpr_read_b32 v2, a12
	v_accvgpr_read_b32 v3, a13
	v_add_co_u32_e32 v2, vcc, v2, v4
	v_addc_co_u32_e32 v3, vcc, v3, v5, vcc
	v_accvgpr_read_b32 v0, a34
	v_add_co_u32_e32 v0, vcc, v0, v4
	v_and_b32_e32 v4, 7, v34
	v_accvgpr_read_b32 v1, a35
	v_mul_lo_u32 v4, v4, s60
	v_addc_co_u32_e32 v1, vcc, v1, v5, vcc
	v_ashrrev_i32_e32 v5, 31, v4
	v_accvgpr_write_b32 a36, v48
	v_lshlrev_b64 v[4:5], 4, v[4:5]
	v_accvgpr_read_b32 v10, a18
	v_accvgpr_write_b32 a37, v49
	v_accvgpr_read_b32 v11, a19
	v_add_co_u32_e32 v49, vcc, v10, v4
	v_addc_co_u32_e32 v44, vcc, v11, v5, vcc
	v_accvgpr_read_b32 v5, a27
	v_accvgpr_read_b32 v9, a26
	v_accvgpr_write_b32 a45, v17
	v_accvgpr_write_b32 a44, v16
	v_add_u32_e32 v48, 1, v34
	s_mov_b64 s[44:45], 0
	v_accvgpr_read_b32 v26, a2
	v_ashrrev_i32_e32 v4, 31, v8
	v_mul_lo_u32 v5, v5, v8
	v_mad_u64_u32 v[2:3], s[16:17], v9, v8, v[2:3]
	v_mul_lo_u32 v4, v9, v4
	v_add3_u32 v3, v5, v3, v4
	v_accvgpr_read_b32 v4, a32
	v_add_co_u32_e32 v18, vcc, v2, v4
	v_accvgpr_read_b32 v5, a3
	v_addc_co_u32_e32 v19, vcc, v3, v5, vcc
	s_branch .LBB0_381
.LBB0_380:                              ;   in Loop: Header=BB0_381 Depth=2
	v_add_co_u32_e32 v18, vcc, v18, v56
	v_addc_co_u32_e32 v19, vcc, v19, v57, vcc
	v_add_co_u32_e32 v0, vcc, v0, v56
	v_addc_co_u32_e32 v1, vcc, v1, v57, vcc
	v_sub_u32_e32 v60, v60, v56
	v_cmp_gt_i32_e32 vcc, 1, v60
	s_or_b64 s[44:45], vcc, s[44:45]
	v_add_u32_e32 v26, v26, v20
	s_andn2_b64 exec, exec, s[44:45]
	s_cbranch_execz .LBB0_639
.LBB0_381:                              ;   Parent Loop BB0_21 Depth=1
                                        ; =>  This Loop Header: Depth=2
                                        ;       Child Loop BB0_389 Depth 3
	v_and_b32_e32 v2, -4, v18
	v_mov_b32_e32 v3, v19
	global_load_dword v8, v[2:3], off glc slc
	v_min_u32_e32 v4, 8, v60
	v_and_b32_e32 v5, 3, v18
	v_add_co_u32_e32 v4, vcc, v5, v4
	v_addc_co_u32_e64 v5, s[16:17], 0, 0, vcc
	v_mov_b32_e32 v31, 0
	v_cmp_lt_u64_e32 vcc, 4, v[4:5]
	v_mov_b32_e32 v32, 0
	s_and_saveexec_b64 s[16:17], vcc
	s_cbranch_execz .LBB0_383
; %bb.382:                              ;   in Loop: Header=BB0_381 Depth=2
	global_load_dword v32, v[2:3], off offset:4 glc slc
.LBB0_383:                              ;   in Loop: Header=BB0_381 Depth=2
	s_or_b64 exec, exec, s[16:17]
	v_cmp_lt_u64_e32 vcc, 8, v[4:5]
	s_and_saveexec_b64 s[16:17], vcc
	s_cbranch_execz .LBB0_385
; %bb.384:                              ;   in Loop: Header=BB0_381 Depth=2
	global_load_dword v31, v[2:3], off offset:8 glc slc
.LBB0_385:                              ;   in Loop: Header=BB0_381 Depth=2
	s_or_b64 exec, exec, s[16:17]
	v_ashrrev_i32_e32 v27, 31, v26
	v_lshlrev_b64 v[2:3], 4, v[26:27]
	v_add_co_u32_e32 v28, vcc, v49, v2
	v_addc_co_u32_e32 v29, vcc, v44, v3, vcc
	global_load_dwordx4 v[2:5], v[28:29], off glc slc
	v_cmp_eq_u32_e32 vcc, 0, v24
	s_and_saveexec_b64 s[46:47], vcc
	s_cbranch_execz .LBB0_397
; %bb.386:                              ;   in Loop: Header=BB0_381 Depth=2
	s_waitcnt vmcnt(0)
	v_cmp_ne_u32_e32 vcc, v48, v3
	v_cmp_ne_u32_e64 s[16:17], v48, v5
	s_or_b64 s[16:17], vcc, s[16:17]
	v_mov_b32_e32 v24, 0
	s_and_saveexec_b64 s[48:49], s[16:17]
	s_cbranch_execz .LBB0_396
; %bb.387:                              ;   in Loop: Header=BB0_381 Depth=2
	s_mov_b32 s54, 1
	s_mov_b64 s[50:51], 0
	v_mov_b32_e32 v24, 0
	s_branch .LBB0_389
.LBB0_388:                              ;   in Loop: Header=BB0_389 Depth=3
	s_or_b64 exec, exec, s[52:53]
	s_and_b64 s[16:17], exec, s[16:17]
	s_or_b64 s[50:51], s[16:17], s[50:51]
	s_andn2_b64 exec, exec, s[50:51]
	s_cbranch_execz .LBB0_395
.LBB0_389:                              ;   Parent Loop BB0_21 Depth=1
                                        ;     Parent Loop BB0_381 Depth=2
                                        ; =>    This Inner Loop Header: Depth=3
	global_load_dwordx4 v[2:5], v[28:29], off glc slc
	s_add_i32 s54, s54, 1
	s_cmpk_lg_i32 s54, 0x2710
	s_cbranch_scc1 .LBB0_393
; %bb.390:                              ;   in Loop: Header=BB0_389 Depth=3
	s_trap 2
	ds_read_b64 v[10:11], v0
	s_waitcnt vmcnt(0) lgkmcnt(0)
	flat_load_dword v9, v[10:11] glc
	s_waitcnt vmcnt(0) lgkmcnt(0)
	buffer_invl2
	buffer_wbinvl1_vol
	v_cmp_ne_u32_e32 vcc, 0, v9
	s_and_saveexec_b64 s[16:17], vcc
	s_cbranch_execz .LBB0_392
; %bb.391:                              ;   in Loop: Header=BB0_389 Depth=3
	v_mov_b32_e32 v24, 1
	ds_write_b32 v0, v9
	s_trap 2
.LBB0_392:                              ;   in Loop: Header=BB0_389 Depth=3
	s_or_b64 exec, exec, s[16:17]
	s_mov_b32 s54, 0
	v_mov_b32_e32 v9, v24
	v_cmp_eq_u32_e32 vcc, 0, v9
	s_mov_b64 s[16:17], -1
	s_and_saveexec_b64 s[52:53], vcc
	s_cbranch_execz .LBB0_388
	s_branch .LBB0_394
.LBB0_393:                              ;   in Loop: Header=BB0_389 Depth=3
	v_mov_b32_e32 v9, 0
	v_cmp_eq_u32_e32 vcc, 0, v9
	s_mov_b64 s[16:17], -1
	s_and_saveexec_b64 s[52:53], vcc
	s_cbranch_execz .LBB0_388
.LBB0_394:                              ;   in Loop: Header=BB0_389 Depth=3
	s_waitcnt vmcnt(0)
	v_cmp_eq_u32_e32 vcc, v48, v3
	v_cmp_eq_u32_e64 s[16:17], v48, v5
	s_and_b64 s[16:17], vcc, s[16:17]
	s_orn2_b64 s[16:17], s[16:17], exec
	s_branch .LBB0_388
.LBB0_395:                              ;   in Loop: Header=BB0_381 Depth=2
	s_or_b64 exec, exec, s[50:51]
.LBB0_396:                              ;   in Loop: Header=BB0_381 Depth=2
	s_or_b64 exec, exec, s[48:49]
.LBB0_397:                              ;   in Loop: Header=BB0_381 Depth=2
	s_or_b64 exec, exec, s[46:47]
	s_waitcnt vmcnt(0)
	v_cmp_ne_u16_sdwa vcc, v2, v41 src0_sel:BYTE_0 src1_sel:DWORD
	v_mov_b32_e32 v9, 0
	v_mov_b32_e32 v10, 0
	s_and_saveexec_b64 s[16:17], vcc
	s_cbranch_execz .LBB0_405
; %bb.398:                              ;   in Loop: Header=BB0_381 Depth=2
	v_cmp_ne_u16_sdwa vcc, sext(v2), s63 src0_sel:BYTE_0 src1_sel:DWORD
	v_bfrev_b32_e32 v10, 1
	s_and_saveexec_b64 s[46:47], vcc
	s_cbranch_execz .LBB0_404
; %bb.399:                              ;   in Loop: Header=BB0_381 Depth=2
	v_and_b32_e32 v10, 0x7c, v2
	v_and_b32_e32 v11, 3, v2
	v_cmp_ne_u32_e32 vcc, s64, v10
                                        ; implicit-def: $vgpr10
	s_and_saveexec_b64 s[48:49], vcc
	s_xor_b64 s[48:49], exec, s[48:49]
	s_cbranch_execz .LBB0_401
; %bb.400:                              ;   in Loop: Header=BB0_381 Depth=2
	v_ffbh_u32_e32 v16, v11
	v_min_u32_e32 v16, 32, v16
	v_bfe_u32 v10, v2, 2, 5
	v_subrev_u32_e32 v17, 29, v16
	v_lshlrev_b64 v[22:23], v17, v[2:3]
	v_sub_u32_e32 v3, 30, v16
	v_cmp_eq_u32_e32 vcc, 0, v10
	v_and_b32_e32 v16, 3, v22
	v_cndmask_b32_e32 v3, v10, v3, vcc
	v_cndmask_b32_e32 v10, v11, v16, vcc
	v_lshlrev_b32_e32 v11, 24, v2
	v_lshl_add_u32 v3, v3, 23, v25
	v_and_or_b32 v3, v11, s65, v3
	v_lshl_or_b32 v10, v10, 21, v3
                                        ; implicit-def: $vgpr11
.LBB0_401:                              ;   in Loop: Header=BB0_381 Depth=2
	s_andn2_saveexec_b64 s[48:49], s[48:49]
; %bb.402:                              ;   in Loop: Header=BB0_381 Depth=2
	v_cmp_gt_i16_sdwa vcc, sext(v2), v30 src0_sel:BYTE_0 src1_sel:DWORD
	v_cndmask_b32_e32 v3, v47, v6, vcc
	v_cmp_eq_u32_e32 vcc, 0, v11
	v_cndmask_b32_e32 v10, v7, v3, vcc
; %bb.403:                              ;   in Loop: Header=BB0_381 Depth=2
	s_or_b64 exec, exec, s[48:49]
.LBB0_404:                              ;   in Loop: Header=BB0_381 Depth=2
	s_or_b64 exec, exec, s[46:47]
.LBB0_405:                              ;   in Loop: Header=BB0_381 Depth=2
	s_or_b64 exec, exec, s[16:17]
	v_lshlrev_b32_e32 v27, 3, v18
	v_alignbit_b32 v40, v32, v8, v27
	v_cmp_ne_u16_sdwa vcc, v40, v41 src0_sel:BYTE_0 src1_sel:DWORD
	s_and_saveexec_b64 s[16:17], vcc
	s_cbranch_execz .LBB0_413
; %bb.406:                              ;   in Loop: Header=BB0_381 Depth=2
	v_cmp_ne_u16_sdwa vcc, sext(v40), s63 src0_sel:BYTE_0 src1_sel:DWORD
	v_bfrev_b32_e32 v9, 1
	s_and_saveexec_b64 s[46:47], vcc
	s_cbranch_execz .LBB0_412
; %bb.407:                              ;   in Loop: Header=BB0_381 Depth=2
	v_and_b32_e32 v8, 0x7c, v40
	v_and_b32_e32 v3, 3, v40
	v_cmp_ne_u32_e32 vcc, s64, v8
                                        ; implicit-def: $vgpr9
	s_and_saveexec_b64 s[48:49], vcc
	s_xor_b64 s[48:49], exec, s[48:49]
	s_cbranch_execz .LBB0_409
; %bb.408:                              ;   in Loop: Header=BB0_381 Depth=2
	v_ffbh_u32_e32 v8, v3
	v_min_u32_e32 v16, 32, v8
	v_subrev_u32_e32 v8, 29, v16
	v_bfe_u32 v11, v40, 2, 5
	v_lshlrev_b64 v[8:9], v8, v[40:41]
	v_sub_u32_e32 v9, 30, v16
	v_cmp_eq_u32_e32 vcc, 0, v11
	v_and_b32_e32 v8, 3, v8
	v_cndmask_b32_e32 v9, v11, v9, vcc
	v_cndmask_b32_e32 v3, v3, v8, vcc
	v_lshlrev_b32_e32 v8, 24, v40
	v_lshl_add_u32 v9, v9, 23, v25
	v_and_or_b32 v8, v8, s65, v9
	v_lshl_or_b32 v9, v3, 21, v8
                                        ; implicit-def: $vgpr3
.LBB0_409:                              ;   in Loop: Header=BB0_381 Depth=2
	s_andn2_saveexec_b64 s[48:49], s[48:49]
; %bb.410:                              ;   in Loop: Header=BB0_381 Depth=2
	v_cmp_gt_i16_sdwa vcc, sext(v40), v30 src0_sel:BYTE_0 src1_sel:DWORD
	v_cndmask_b32_e32 v8, v47, v6, vcc
	v_cmp_eq_u32_e32 vcc, 0, v3
	v_cndmask_b32_e32 v9, v7, v8, vcc
; %bb.411:                              ;   in Loop: Header=BB0_381 Depth=2
	s_or_b64 exec, exec, s[48:49]
.LBB0_412:                              ;   in Loop: Header=BB0_381 Depth=2
	s_or_b64 exec, exec, s[46:47]
.LBB0_413:                              ;   in Loop: Header=BB0_381 Depth=2
	s_or_b64 exec, exec, s[16:17]
	v_mul_f32_e32 v9, v10, v9
	v_and_b32_sdwa v3, v9, s66 dst_sel:DWORD dst_unused:UNUSED_PAD src0_sel:BYTE_3 src1_sel:DWORD
	v_and_b32_e32 v22, 0x7f800000, v9
	v_mov_b32_e32 v23, v41
	v_and_b32_e32 v10, 0x7fffff, v9
	v_mov_b32_e32 v11, v41
	v_or_b32_e32 v8, 0x7b, v3
	v_cmp_ne_u64_e32 vcc, s[38:39], v[22:23]
	s_and_saveexec_b64 s[16:17], vcc
	s_xor_b64 s[46:47], exec, s[16:17]
	s_cbranch_execz .LBB0_423
; %bb.414:                              ;   in Loop: Header=BB0_381 Depth=2
	v_and_b32_e32 v22, 0x7fffffff, v9
	v_mov_b32_e32 v23, v41
	v_cmp_gt_u64_e32 vcc, s[40:41], v[22:23]
	s_and_saveexec_b64 s[48:49], vcc
	s_cbranch_execz .LBB0_422
; %bb.415:                              ;   in Loop: Header=BB0_381 Depth=2
	v_cmp_ne_u32_e32 vcc, 0, v9
	v_mov_b32_e32 v8, 0
	s_and_saveexec_b64 s[50:51], vcc
	s_cbranch_execz .LBB0_421
; %bb.416:                              ;   in Loop: Header=BB0_381 Depth=2
	v_bfe_u32 v8, v9, 23, 8
	v_sub_u32_e32 v16, 0x71, v8
	v_cmp_gt_u32_e32 vcc, s67, v8
	v_cndmask_b32_e32 v16, 0, v16, vcc
	v_cmp_eq_u32_e32 vcc, 0, v8
	v_cndmask_b32_e32 v16, v16, v55, vcc
	v_add_u32_e32 v9, 0xffffff81, v8
	v_add_u32_e32 v8, 21, v16
	v_or_b32_e32 v17, 0x800000, v10
	v_cndmask_b32_e32 v21, v9, v54, vcc
	v_lshlrev_b64 v[8:9], v8, -1
	v_cndmask_b32_e32 v10, v17, v10, vcc
	v_not_b32_e32 v8, v8
	v_and_b32_e32 v22, v10, v8
	v_add_u32_e32 v8, 20, v16
	v_lshrrev_b64 v[10:11], v16, v[10:11]
	v_not_b32_e32 v9, v9
	v_lshlrev_b64 v[28:29], v8, 1
	v_lshrrev_b32_e32 v8, 23, v10
	v_and_b32_e32 v23, 0, v9
	v_add3_u32 v21, v16, v21, v8
	v_bfe_u32 v8, v10, 21, 1
	v_add_u32_e32 v8, -1, v8
	v_cmp_eq_u64_e32 vcc, v[22:23], v[28:29]
	v_cndmask_b32_e32 v8, 0, v8, vcc
	v_add_u32_e32 v8, v8, v10
	v_and_b32_e32 v8, 0x1fffff, v8
	v_add_co_u32_e32 v10, vcc, v8, v10
	v_add_u32_e32 v9, 14, v21
	v_addc_co_u32_e32 v11, vcc, 0, v11, vcc
	v_cmp_ne_u32_e32 vcc, 0, v9
                                        ; implicit-def: $vgpr8
	s_and_saveexec_b64 s[16:17], vcc
	s_xor_b64 s[16:17], exec, s[16:17]
; %bb.417:                              ;   in Loop: Header=BB0_381 Depth=2
	v_add_u32_e32 v8, 15, v21
	v_cmp_lt_u64_e32 vcc, s[42:43], v[10:11]
	v_cndmask_b32_e32 v8, v9, v8, vcc
	v_cndmask_b32_e64 v9, 0, 1, vcc
	v_lshrrev_b64 v[10:11], v9, v[10:11]
; %bb.418:                              ;   in Loop: Header=BB0_381 Depth=2
	s_andn2_saveexec_b64 s[16:17], s[16:17]
; %bb.419:                              ;   in Loop: Header=BB0_381 Depth=2
	v_bfe_u32 v8, v10, 23, 1
; %bb.420:                              ;   in Loop: Header=BB0_381 Depth=2
	s_or_b64 exec, exec, s[16:17]
	v_lshrrev_b64 v[10:11], 21, v[10:11]
	v_cmp_gt_i32_e32 vcc, 32, v8
	v_cndmask_b32_e32 v11, 0, v11, vcc
	v_cndmask_b32_e32 v10, 3, v10, vcc
	v_cmp_eq_u32_e32 vcc, 0, v8
	v_min_i32_e32 v8, 31, v8
	v_cmp_eq_u64_e64 s[16:17], 0, v[10:11]
	v_lshlrev_b32_e32 v8, 2, v8
	v_and_or_b32 v8, v10, 3, v8
	s_and_b64 s[16:17], vcc, s[16:17]
	v_cndmask_b32_e64 v8, v8, 0, s[16:17]
	v_or_b32_e32 v8, v8, v3
.LBB0_421:                              ;   in Loop: Header=BB0_381 Depth=2
	s_or_b64 exec, exec, s[50:51]
.LBB0_422:                              ;   in Loop: Header=BB0_381 Depth=2
	s_or_b64 exec, exec, s[48:49]
                                        ; implicit-def: $vgpr9
                                        ; implicit-def: $vgpr10_vgpr11
.LBB0_423:                              ;   in Loop: Header=BB0_381 Depth=2
	s_andn2_saveexec_b64 s[16:17], s[46:47]
; %bb.424:                              ;   in Loop: Header=BB0_381 Depth=2
	v_or_b32_sdwa v3, v9, s68 dst_sel:DWORD dst_unused:UNUSED_PAD src0_sel:BYTE_3 src1_sel:DWORD
	v_cmp_eq_u64_e32 vcc, 0, v[10:11]
	v_cndmask_b32_e32 v8, v3, v8, vcc
; %bb.425:                              ;   in Loop: Header=BB0_381 Depth=2
	s_or_b64 exec, exec, s[16:17]
	v_lshrrev_b16_e32 v10, 8, v2
	v_cmp_ne_u16_e32 vcc, 0, v10
	v_mov_b32_e32 v3, 0
	v_mov_b32_e32 v9, 0
	s_and_saveexec_b64 s[16:17], vcc
	s_cbranch_execz .LBB0_433
; %bb.426:                              ;   in Loop: Header=BB0_381 Depth=2
	v_cmp_ne_u16_e32 vcc, s66, v10
	v_bfrev_b32_e32 v9, 1
	s_and_saveexec_b64 s[46:47], vcc
	s_cbranch_execz .LBB0_432
; %bb.427:                              ;   in Loop: Header=BB0_381 Depth=2
	v_and_b32_e32 v9, 0x7c, v10
	v_and_b32_e32 v21, 3, v10
	v_cmp_ne_u32_e32 vcc, s64, v9
                                        ; implicit-def: $vgpr9
	s_and_saveexec_b64 s[48:49], vcc
	s_xor_b64 s[48:49], exec, s[48:49]
	s_cbranch_execz .LBB0_429
; %bb.428:                              ;   in Loop: Header=BB0_381 Depth=2
	v_ffbh_u32_e32 v16, v21
	v_min_u32_e32 v16, 32, v16
	v_mov_b32_e32 v11, v41
	v_subrev_u32_e32 v17, 29, v16
	v_bfe_u32 v9, v10, 2, 5
	v_lshlrev_b64 v[10:11], v17, v[10:11]
	v_sub_u32_e32 v11, 30, v16
	v_cmp_eq_u32_e32 vcc, 0, v9
	v_cndmask_b32_e32 v9, v9, v11, vcc
	v_and_b32_e32 v10, 3, v10
	v_lshlrev_b32_e32 v11, 16, v2
	v_lshl_add_u32 v9, v9, 23, v25
	v_cndmask_b32_e32 v10, v21, v10, vcc
	v_and_or_b32 v9, v11, s65, v9
	v_lshl_or_b32 v9, v10, 21, v9
                                        ; implicit-def: $vgpr21
.LBB0_429:                              ;   in Loop: Header=BB0_381 Depth=2
	s_andn2_saveexec_b64 s[48:49], s[48:49]
; %bb.430:                              ;   in Loop: Header=BB0_381 Depth=2
	v_cmp_lt_i16_e32 vcc, -1, v2
	v_cndmask_b32_e32 v9, v47, v6, vcc
	v_cmp_eq_u32_e32 vcc, 0, v21
	v_cndmask_b32_e32 v9, v7, v9, vcc
; %bb.431:                              ;   in Loop: Header=BB0_381 Depth=2
	s_or_b64 exec, exec, s[48:49]
.LBB0_432:                              ;   in Loop: Header=BB0_381 Depth=2
	s_or_b64 exec, exec, s[46:47]
.LBB0_433:                              ;   in Loop: Header=BB0_381 Depth=2
	s_or_b64 exec, exec, s[16:17]
	v_lshrrev_b16_e32 v10, 8, v40
	v_cmp_ne_u16_e32 vcc, 0, v10
	s_and_saveexec_b64 s[16:17], vcc
	s_cbranch_execz .LBB0_441
; %bb.434:                              ;   in Loop: Header=BB0_381 Depth=2
	v_cmp_ne_u16_e32 vcc, s66, v10
	v_bfrev_b32_e32 v3, 1
	s_and_saveexec_b64 s[46:47], vcc
	s_cbranch_execz .LBB0_440
; %bb.435:                              ;   in Loop: Header=BB0_381 Depth=2
	v_and_b32_e32 v3, 0x7c, v10
	v_and_b32_e32 v21, 3, v10
	v_cmp_ne_u32_e32 vcc, s64, v3
                                        ; implicit-def: $vgpr3
	s_and_saveexec_b64 s[48:49], vcc
	s_xor_b64 s[48:49], exec, s[48:49]
	s_cbranch_execz .LBB0_437
; %bb.436:                              ;   in Loop: Header=BB0_381 Depth=2
	v_ffbh_u32_e32 v16, v21
	v_min_u32_e32 v16, 32, v16
	v_mov_b32_e32 v11, v41
	v_subrev_u32_e32 v17, 29, v16
	v_bfe_u32 v3, v10, 2, 5
	v_lshlrev_b64 v[10:11], v17, v[10:11]
	v_sub_u32_e32 v11, 30, v16
	v_cmp_eq_u32_e32 vcc, 0, v3
	v_cndmask_b32_e32 v3, v3, v11, vcc
	v_and_b32_e32 v10, 3, v10
	v_lshlrev_b32_e32 v11, 16, v40
	v_lshl_add_u32 v3, v3, 23, v25
	v_cndmask_b32_e32 v10, v21, v10, vcc
	v_and_or_b32 v3, v11, s65, v3
	v_lshl_or_b32 v3, v10, 21, v3
                                        ; implicit-def: $vgpr21
.LBB0_437:                              ;   in Loop: Header=BB0_381 Depth=2
	s_andn2_saveexec_b64 s[48:49], s[48:49]
; %bb.438:                              ;   in Loop: Header=BB0_381 Depth=2
	v_cmp_lt_i16_e32 vcc, -1, v40
	v_cndmask_b32_e32 v3, v47, v6, vcc
	v_cmp_eq_u32_e32 vcc, 0, v21
	v_cndmask_b32_e32 v3, v7, v3, vcc
; %bb.439:                              ;   in Loop: Header=BB0_381 Depth=2
	s_or_b64 exec, exec, s[48:49]
.LBB0_440:                              ;   in Loop: Header=BB0_381 Depth=2
	s_or_b64 exec, exec, s[46:47]
.LBB0_441:                              ;   in Loop: Header=BB0_381 Depth=2
	s_or_b64 exec, exec, s[16:17]
	v_mul_f32_e32 v21, v9, v3
	v_and_b32_sdwa v3, v21, s66 dst_sel:DWORD dst_unused:UNUSED_PAD src0_sel:BYTE_3 src1_sel:DWORD
	v_and_b32_e32 v22, 0x7f800000, v21
	v_mov_b32_e32 v23, v41
	v_and_b32_e32 v10, 0x7fffff, v21
	v_mov_b32_e32 v11, v41
	v_or_b32_e32 v9, 0x7b, v3
	v_cmp_ne_u64_e32 vcc, s[38:39], v[22:23]
	s_and_saveexec_b64 s[16:17], vcc
	s_xor_b64 s[46:47], exec, s[16:17]
	s_cbranch_execz .LBB0_451
; %bb.442:                              ;   in Loop: Header=BB0_381 Depth=2
	v_and_b32_e32 v22, 0x7fffffff, v21
	v_mov_b32_e32 v23, v41
	v_cmp_gt_u64_e32 vcc, s[40:41], v[22:23]
	s_and_saveexec_b64 s[48:49], vcc
	s_cbranch_execz .LBB0_450
; %bb.443:                              ;   in Loop: Header=BB0_381 Depth=2
	v_cmp_ne_u32_e32 vcc, 0, v21
	v_mov_b32_e32 v9, 0
	s_and_saveexec_b64 s[50:51], vcc
	s_cbranch_execz .LBB0_449
; %bb.444:                              ;   in Loop: Header=BB0_381 Depth=2
	v_bfe_u32 v9, v21, 23, 8
	v_sub_u32_e32 v17, 0x71, v9
	v_cmp_gt_u32_e32 vcc, s67, v9
	v_cndmask_b32_e32 v17, 0, v17, vcc
	v_cmp_eq_u32_e32 vcc, 0, v9
	v_add_u32_e32 v16, 0xffffff81, v9
	v_cndmask_b32_e32 v33, v17, v55, vcc
	v_cndmask_b32_e32 v9, v16, v54, vcc
	v_add_u32_e32 v16, 21, v33
	v_or_b32_e32 v21, 0x800000, v10
	v_lshlrev_b64 v[22:23], v16, -1
	v_cndmask_b32_e32 v10, v21, v10, vcc
	v_not_b32_e32 v17, v22
	v_not_b32_e32 v16, v23
	v_and_b32_e32 v28, v10, v17
	v_lshrrev_b64 v[10:11], v33, v[10:11]
	v_and_b32_e32 v29, 0, v16
	v_add_u32_e32 v16, 20, v33
	v_lshrrev_b32_e32 v21, 23, v10
	v_lshlrev_b64 v[16:17], v16, 1
	v_add3_u32 v22, v33, v9, v21
	v_bfe_u32 v9, v10, 21, 1
	v_add_u32_e32 v9, -1, v9
	v_cmp_eq_u64_e32 vcc, v[28:29], v[16:17]
	v_cndmask_b32_e32 v9, 0, v9, vcc
	v_add_u32_e32 v9, v9, v10
	v_and_b32_e32 v9, 0x1fffff, v9
	v_add_co_u32_e32 v10, vcc, v9, v10
	v_add_u32_e32 v21, 14, v22
	v_addc_co_u32_e32 v11, vcc, 0, v11, vcc
	v_cmp_ne_u32_e32 vcc, 0, v21
                                        ; implicit-def: $vgpr9
	s_and_saveexec_b64 s[16:17], vcc
	s_xor_b64 s[16:17], exec, s[16:17]
; %bb.445:                              ;   in Loop: Header=BB0_381 Depth=2
	v_cmp_lt_u64_e32 vcc, s[42:43], v[10:11]
	v_add_u32_e32 v9, 15, v22
	v_cndmask_b32_e64 v16, 0, 1, vcc
	v_cndmask_b32_e32 v9, v21, v9, vcc
	v_lshrrev_b64 v[10:11], v16, v[10:11]
; %bb.446:                              ;   in Loop: Header=BB0_381 Depth=2
	s_andn2_saveexec_b64 s[16:17], s[16:17]
; %bb.447:                              ;   in Loop: Header=BB0_381 Depth=2
	v_bfe_u32 v9, v10, 23, 1
; %bb.448:                              ;   in Loop: Header=BB0_381 Depth=2
	s_or_b64 exec, exec, s[16:17]
	v_lshrrev_b64 v[10:11], 21, v[10:11]
	v_cmp_gt_i32_e32 vcc, 32, v9
	v_cndmask_b32_e32 v11, 0, v11, vcc
	v_cndmask_b32_e32 v10, 3, v10, vcc
	v_cmp_eq_u32_e32 vcc, 0, v9
	v_min_i32_e32 v9, 31, v9
	v_cmp_eq_u64_e64 s[16:17], 0, v[10:11]
	v_lshlrev_b32_e32 v9, 2, v9
	v_and_or_b32 v9, v10, 3, v9
	s_and_b64 s[16:17], vcc, s[16:17]
	v_cndmask_b32_e64 v9, v9, 0, s[16:17]
	v_or_b32_e32 v9, v9, v3
.LBB0_449:                              ;   in Loop: Header=BB0_381 Depth=2
	s_or_b64 exec, exec, s[50:51]
.LBB0_450:                              ;   in Loop: Header=BB0_381 Depth=2
	s_or_b64 exec, exec, s[48:49]
                                        ; implicit-def: $vgpr21
                                        ; implicit-def: $vgpr10_vgpr11
.LBB0_451:                              ;   in Loop: Header=BB0_381 Depth=2
	s_andn2_saveexec_b64 s[16:17], s[46:47]
; %bb.452:                              ;   in Loop: Header=BB0_381 Depth=2
	v_or_b32_sdwa v3, v21, s68 dst_sel:DWORD dst_unused:UNUSED_PAD src0_sel:BYTE_3 src1_sel:DWORD
	v_cmp_eq_u64_e32 vcc, 0, v[10:11]
	v_cndmask_b32_e32 v9, v3, v9, vcc
; %bb.453:                              ;   in Loop: Header=BB0_381 Depth=2
	s_or_b64 exec, exec, s[16:17]
	v_lshrrev_b32_e32 v10, 16, v2
	v_cmp_ne_u16_sdwa vcc, v10, v41 src0_sel:BYTE_0 src1_sel:DWORD
	v_mov_b32_e32 v11, 0
	v_mov_b32_e32 v3, 0
	s_and_saveexec_b64 s[16:17], vcc
	s_cbranch_execz .LBB0_461
; %bb.454:                              ;   in Loop: Header=BB0_381 Depth=2
	v_cmp_ne_u16_sdwa vcc, v10, s66 src0_sel:BYTE_0 src1_sel:DWORD
	v_bfrev_b32_e32 v3, 1
	s_and_saveexec_b64 s[46:47], vcc
	s_cbranch_execz .LBB0_460
; %bb.455:                              ;   in Loop: Header=BB0_381 Depth=2
	v_and_b32_e32 v3, 0x7c0000, v2
	v_bfe_u32 v21, v2, 16, 2
	v_cmp_ne_u32_e32 vcc, s69, v3
                                        ; implicit-def: $vgpr3
	s_and_saveexec_b64 s[48:49], vcc
	s_xor_b64 s[48:49], exec, s[48:49]
	s_cbranch_execz .LBB0_457
; %bb.456:                              ;   in Loop: Header=BB0_381 Depth=2
	v_ffbh_u32_e32 v16, v21
	v_min_u32_e32 v22, 32, v16
	v_bfe_u32 v3, v2, 18, 5
	v_subrev_u32_e32 v16, 29, v22
	v_lshlrev_b64 v[16:17], v16, v[10:11]
	v_sub_u32_e32 v10, 30, v22
	v_cmp_eq_u32_e32 vcc, 0, v3
	v_and_b32_e32 v16, 3, v16
	v_cndmask_b32_e32 v3, v3, v10, vcc
	v_cndmask_b32_e32 v10, v21, v16, vcc
	v_lshlrev_b32_e32 v16, 8, v2
	v_lshl_add_u32 v3, v3, 23, v25
	v_and_or_b32 v3, v16, s65, v3
	v_lshl_or_b32 v3, v10, 21, v3
                                        ; implicit-def: $vgpr21
                                        ; implicit-def: $vgpr10
.LBB0_457:                              ;   in Loop: Header=BB0_381 Depth=2
	s_andn2_saveexec_b64 s[48:49], s[48:49]
; %bb.458:                              ;   in Loop: Header=BB0_381 Depth=2
	v_cmp_gt_i16_sdwa vcc, sext(v10), v30 src0_sel:BYTE_0 src1_sel:DWORD
	v_cndmask_b32_e32 v3, v47, v6, vcc
	v_cmp_eq_u32_e32 vcc, 0, v21
	v_cndmask_b32_e32 v3, v7, v3, vcc
; %bb.459:                              ;   in Loop: Header=BB0_381 Depth=2
	s_or_b64 exec, exec, s[48:49]
.LBB0_460:                              ;   in Loop: Header=BB0_381 Depth=2
	s_or_b64 exec, exec, s[46:47]
.LBB0_461:                              ;   in Loop: Header=BB0_381 Depth=2
	s_or_b64 exec, exec, s[16:17]
	v_and_b32_sdwa v21, v40, s62 dst_sel:DWORD dst_unused:UNUSED_PAD src0_sel:WORD_1 src1_sel:DWORD
	v_lshrrev_b32_e32 v10, 16, v40
	v_cmp_ne_u16_e32 vcc, 0, v21
	s_and_saveexec_b64 s[16:17], vcc
	s_cbranch_execz .LBB0_469
; %bb.462:                              ;   in Loop: Header=BB0_381 Depth=2
	v_cmp_ne_u16_e32 vcc, s66, v21
	v_bfrev_b32_e32 v11, 1
	s_and_saveexec_b64 s[46:47], vcc
	s_cbranch_execz .LBB0_468
; %bb.463:                              ;   in Loop: Header=BB0_381 Depth=2
	v_and_b32_e32 v11, 0x7c0000, v40
	v_bfe_u32 v21, v40, 16, 2
	v_cmp_ne_u32_e32 vcc, s69, v11
                                        ; implicit-def: $vgpr11
	s_and_saveexec_b64 s[48:49], vcc
	s_xor_b64 s[48:49], exec, s[48:49]
	s_cbranch_execz .LBB0_465
; %bb.464:                              ;   in Loop: Header=BB0_381 Depth=2
	v_ffbh_u32_e32 v11, v21
	v_min_u32_e32 v17, 32, v11
	v_lshrrev_b32_e32 v10, 16, v40
	v_subrev_u32_e32 v11, 29, v17
	v_bfe_u32 v16, v40, 18, 5
	v_lshlrev_b64 v[10:11], v11, v[10:11]
	v_sub_u32_e32 v11, 30, v17
	v_cmp_eq_u32_e32 vcc, 0, v16
	v_cndmask_b32_e32 v11, v16, v11, vcc
	v_and_b32_e32 v10, 3, v10
	v_lshlrev_b32_e32 v16, 8, v40
	v_lshl_add_u32 v11, v11, 23, v25
	v_cndmask_b32_e32 v10, v21, v10, vcc
	v_and_or_b32 v11, v16, s65, v11
	v_lshl_or_b32 v11, v10, 21, v11
                                        ; implicit-def: $vgpr21
                                        ; implicit-def: $vgpr10
.LBB0_465:                              ;   in Loop: Header=BB0_381 Depth=2
	s_andn2_saveexec_b64 s[48:49], s[48:49]
; %bb.466:                              ;   in Loop: Header=BB0_381 Depth=2
	v_cmp_gt_i16_sdwa vcc, sext(v10), v30 src0_sel:BYTE_0 src1_sel:DWORD
	v_cndmask_b32_e32 v10, v47, v6, vcc
	v_cmp_eq_u32_e32 vcc, 0, v21
	v_cndmask_b32_e32 v11, v7, v10, vcc
; %bb.467:                              ;   in Loop: Header=BB0_381 Depth=2
	s_or_b64 exec, exec, s[48:49]
.LBB0_468:                              ;   in Loop: Header=BB0_381 Depth=2
	s_or_b64 exec, exec, s[46:47]
.LBB0_469:                              ;   in Loop: Header=BB0_381 Depth=2
	s_or_b64 exec, exec, s[16:17]
	v_mul_f32_e32 v28, v3, v11
	v_and_b32_sdwa v3, v28, s66 dst_sel:DWORD dst_unused:UNUSED_PAD src0_sel:BYTE_3 src1_sel:DWORD
	v_and_b32_e32 v16, 0x7f800000, v28
	v_mov_b32_e32 v17, v41
	v_and_b32_e32 v10, 0x7fffff, v28
	v_mov_b32_e32 v11, v41
	v_or_b32_e32 v21, 0x7b, v3
	v_cmp_ne_u64_e32 vcc, s[38:39], v[16:17]
	s_and_saveexec_b64 s[16:17], vcc
	s_xor_b64 s[46:47], exec, s[16:17]
	s_cbranch_execz .LBB0_479
; %bb.470:                              ;   in Loop: Header=BB0_381 Depth=2
	v_and_b32_e32 v16, 0x7fffffff, v28
	v_mov_b32_e32 v17, v41
	v_cmp_gt_u64_e32 vcc, s[40:41], v[16:17]
	s_and_saveexec_b64 s[48:49], vcc
	s_cbranch_execz .LBB0_478
; %bb.471:                              ;   in Loop: Header=BB0_381 Depth=2
	v_cmp_ne_u32_e32 vcc, 0, v28
	v_mov_b32_e32 v21, 0
	s_and_saveexec_b64 s[50:51], vcc
	s_cbranch_execz .LBB0_477
; %bb.472:                              ;   in Loop: Header=BB0_381 Depth=2
	v_bfe_u32 v16, v28, 23, 8
	v_sub_u32_e32 v21, 0x71, v16
	v_cmp_gt_u32_e32 vcc, s67, v16
	v_cndmask_b32_e32 v21, 0, v21, vcc
	v_cmp_eq_u32_e32 vcc, 0, v16
	v_cndmask_b32_e32 v21, v21, v55, vcc
	v_add_u32_e32 v17, 0xffffff81, v16
	v_add_u32_e32 v16, 21, v21
	v_or_b32_e32 v22, 0x800000, v10
	v_cndmask_b32_e32 v23, v17, v54, vcc
	v_lshlrev_b64 v[16:17], v16, -1
	v_cndmask_b32_e32 v10, v22, v10, vcc
	v_not_b32_e32 v16, v16
	v_and_b32_e32 v16, v10, v16
	v_add_u32_e32 v22, 20, v21
	v_lshrrev_b64 v[10:11], v21, v[10:11]
	v_not_b32_e32 v17, v17
	v_lshlrev_b64 v[28:29], v22, 1
	v_lshrrev_b32_e32 v22, 23, v10
	v_and_b32_e32 v17, 0, v17
	v_add3_u32 v23, v21, v23, v22
	v_bfe_u32 v21, v10, 21, 1
	v_add_u32_e32 v21, -1, v21
	v_cmp_eq_u64_e32 vcc, v[16:17], v[28:29]
	v_cndmask_b32_e32 v16, 0, v21, vcc
	v_add_u32_e32 v16, v16, v10
	v_and_b32_e32 v16, 0x1fffff, v16
	v_add_co_u32_e32 v10, vcc, v16, v10
	v_add_u32_e32 v22, 14, v23
	v_addc_co_u32_e32 v11, vcc, 0, v11, vcc
	v_cmp_ne_u32_e32 vcc, 0, v22
                                        ; implicit-def: $vgpr21
	s_and_saveexec_b64 s[16:17], vcc
	s_xor_b64 s[16:17], exec, s[16:17]
; %bb.473:                              ;   in Loop: Header=BB0_381 Depth=2
	v_add_u32_e32 v16, 15, v23
	v_cmp_lt_u64_e32 vcc, s[42:43], v[10:11]
	v_cndmask_b32_e32 v21, v22, v16, vcc
	v_cndmask_b32_e64 v16, 0, 1, vcc
	v_lshrrev_b64 v[10:11], v16, v[10:11]
; %bb.474:                              ;   in Loop: Header=BB0_381 Depth=2
	s_andn2_saveexec_b64 s[16:17], s[16:17]
; %bb.475:                              ;   in Loop: Header=BB0_381 Depth=2
	v_bfe_u32 v21, v10, 23, 1
; %bb.476:                              ;   in Loop: Header=BB0_381 Depth=2
	s_or_b64 exec, exec, s[16:17]
	v_lshrrev_b64 v[10:11], 21, v[10:11]
	v_cmp_gt_i32_e32 vcc, 32, v21
	v_cndmask_b32_e32 v11, 0, v11, vcc
	v_cndmask_b32_e32 v10, 3, v10, vcc
	v_cmp_eq_u64_e64 s[16:17], 0, v[10:11]
	v_min_i32_e32 v11, 31, v21
	v_cmp_eq_u32_e32 vcc, 0, v21
	v_lshlrev_b32_e32 v11, 2, v11
	v_and_or_b32 v10, v10, 3, v11
	s_and_b64 s[16:17], vcc, s[16:17]
	v_cndmask_b32_e64 v10, v10, 0, s[16:17]
	v_or_b32_e32 v21, v10, v3
.LBB0_477:                              ;   in Loop: Header=BB0_381 Depth=2
	s_or_b64 exec, exec, s[50:51]
.LBB0_478:                              ;   in Loop: Header=BB0_381 Depth=2
	s_or_b64 exec, exec, s[48:49]
                                        ; implicit-def: $vgpr28
                                        ; implicit-def: $vgpr10_vgpr11
.LBB0_479:                              ;   in Loop: Header=BB0_381 Depth=2
	s_andn2_saveexec_b64 s[16:17], s[46:47]
; %bb.480:                              ;   in Loop: Header=BB0_381 Depth=2
	v_or_b32_sdwa v3, v28, s68 dst_sel:DWORD dst_unused:UNUSED_PAD src0_sel:BYTE_3 src1_sel:DWORD
	v_cmp_eq_u64_e32 vcc, 0, v[10:11]
	v_cndmask_b32_e32 v21, v3, v21, vcc
; %bb.481:                              ;   in Loop: Header=BB0_381 Depth=2
	s_or_b64 exec, exec, s[16:17]
	v_cmp_lt_u32_e32 vcc, s37, v2
	v_mov_b32_e32 v3, 0
	v_mov_b32_e32 v11, 0
	s_and_saveexec_b64 s[16:17], vcc
	s_cbranch_execz .LBB0_489
; %bb.482:                              ;   in Loop: Header=BB0_381 Depth=2
	v_lshrrev_b32_e32 v10, 24, v2
	v_cmp_ne_u32_e32 vcc, s66, v10
	v_bfrev_b32_e32 v11, 1
	s_and_saveexec_b64 s[46:47], vcc
	s_cbranch_execz .LBB0_488
; %bb.483:                              ;   in Loop: Header=BB0_381 Depth=2
	v_and_b32_e32 v11, 0x7c000000, v2
	v_bfe_u32 v28, v2, 24, 2
	v_cmp_ne_u32_e32 vcc, s70, v11
                                        ; implicit-def: $vgpr11
	s_and_saveexec_b64 s[48:49], vcc
	s_xor_b64 s[48:49], exec, s[48:49]
	s_cbranch_execz .LBB0_485
; %bb.484:                              ;   in Loop: Header=BB0_381 Depth=2
	v_ffbh_u32_e32 v11, v28
	v_min_u32_e32 v17, 32, v11
	v_subrev_u32_e32 v11, 29, v17
	v_bfe_u32 v16, v2, 26, 5
	v_lshlrev_b64 v[10:11], v11, v[10:11]
	v_sub_u32_e32 v11, 30, v17
	v_cmp_eq_u32_e32 vcc, 0, v16
	v_cndmask_b32_e32 v11, v16, v11, vcc
	v_and_b32_e32 v10, 3, v10
	v_lshl_add_u32 v11, v11, 23, v25
	v_cndmask_b32_e32 v10, v28, v10, vcc
	v_and_or_b32 v2, v2, s65, v11
	v_lshl_or_b32 v11, v10, 21, v2
                                        ; implicit-def: $vgpr28
.LBB0_485:                              ;   in Loop: Header=BB0_381 Depth=2
	s_andn2_saveexec_b64 s[48:49], s[48:49]
; %bb.486:                              ;   in Loop: Header=BB0_381 Depth=2
	v_cmp_lt_i32_e32 vcc, -1, v2
	v_cndmask_b32_e32 v2, v47, v6, vcc
	v_cmp_eq_u32_e32 vcc, 0, v28
	v_cndmask_b32_e32 v11, v7, v2, vcc
; %bb.487:                              ;   in Loop: Header=BB0_381 Depth=2
	s_or_b64 exec, exec, s[48:49]
.LBB0_488:                              ;   in Loop: Header=BB0_381 Depth=2
	s_or_b64 exec, exec, s[46:47]
.LBB0_489:                              ;   in Loop: Header=BB0_381 Depth=2
	s_or_b64 exec, exec, s[16:17]
	v_cmp_lt_u32_e32 vcc, s37, v40
	s_and_saveexec_b64 s[16:17], vcc
	s_cbranch_execz .LBB0_497
; %bb.490:                              ;   in Loop: Header=BB0_381 Depth=2
	v_lshrrev_b32_e32 v2, 24, v40
	v_cmp_ne_u32_e32 vcc, s66, v2
	v_bfrev_b32_e32 v3, 1
	s_and_saveexec_b64 s[46:47], vcc
	s_cbranch_execz .LBB0_496
; %bb.491:                              ;   in Loop: Header=BB0_381 Depth=2
	v_and_b32_e32 v3, 0x7c000000, v40
	v_bfe_u32 v10, v40, 24, 2
	v_cmp_ne_u32_e32 vcc, s70, v3
                                        ; implicit-def: $vgpr3
	s_and_saveexec_b64 s[48:49], vcc
	s_xor_b64 s[48:49], exec, s[48:49]
	s_cbranch_execz .LBB0_493
; %bb.492:                              ;   in Loop: Header=BB0_381 Depth=2
	v_ffbh_u32_e32 v3, v10
	v_min_u32_e32 v17, 32, v3
	v_subrev_u32_e32 v3, 29, v17
	v_bfe_u32 v16, v40, 26, 5
	v_lshlrev_b64 v[2:3], v3, v[2:3]
	v_sub_u32_e32 v3, 30, v17
	v_cmp_eq_u32_e32 vcc, 0, v16
	v_cndmask_b32_e32 v3, v16, v3, vcc
	v_and_b32_e32 v2, 3, v2
	v_lshl_add_u32 v3, v3, 23, v25
	v_cndmask_b32_e32 v2, v10, v2, vcc
	v_and_or_b32 v3, v40, s65, v3
	v_lshl_or_b32 v3, v2, 21, v3
                                        ; implicit-def: $vgpr10
.LBB0_493:                              ;   in Loop: Header=BB0_381 Depth=2
	s_andn2_saveexec_b64 s[48:49], s[48:49]
; %bb.494:                              ;   in Loop: Header=BB0_381 Depth=2
	v_cmp_lt_i32_e32 vcc, -1, v40
	v_cndmask_b32_e32 v2, v47, v6, vcc
	v_cmp_eq_u32_e32 vcc, 0, v10
	v_cndmask_b32_e32 v3, v7, v2, vcc
; %bb.495:                              ;   in Loop: Header=BB0_381 Depth=2
	s_or_b64 exec, exec, s[48:49]
.LBB0_496:                              ;   in Loop: Header=BB0_381 Depth=2
	s_or_b64 exec, exec, s[46:47]
.LBB0_497:                              ;   in Loop: Header=BB0_381 Depth=2
	s_or_b64 exec, exec, s[16:17]
	v_mul_f32_e32 v2, v11, v3
	v_and_b32_sdwa v10, v2, s66 dst_sel:DWORD dst_unused:UNUSED_PAD src0_sel:BYTE_3 src1_sel:DWORD
	v_and_b32_e32 v16, 0x7f800000, v2
	v_mov_b32_e32 v17, v41
	v_and_b32_e32 v40, 0x7fffff, v2
	v_or_b32_e32 v11, 0x7b, v10
	v_cmp_ne_u64_e32 vcc, s[38:39], v[16:17]
	s_and_saveexec_b64 s[16:17], vcc
	s_xor_b64 s[46:47], exec, s[16:17]
	s_cbranch_execz .LBB0_507
; %bb.498:                              ;   in Loop: Header=BB0_381 Depth=2
	v_and_b32_e32 v16, 0x7fffffff, v2
	v_mov_b32_e32 v17, v41
	v_cmp_gt_u64_e32 vcc, s[40:41], v[16:17]
	s_and_saveexec_b64 s[48:49], vcc
	s_cbranch_execz .LBB0_506
; %bb.499:                              ;   in Loop: Header=BB0_381 Depth=2
	v_cmp_ne_u32_e32 vcc, 0, v2
	v_mov_b32_e32 v11, 0
	s_and_saveexec_b64 s[50:51], vcc
	s_cbranch_execz .LBB0_505
; %bb.500:                              ;   in Loop: Header=BB0_381 Depth=2
	v_bfe_u32 v2, v2, 23, 8
	v_sub_u32_e32 v11, 0x71, v2
	v_cmp_gt_u32_e32 vcc, s67, v2
	v_cndmask_b32_e32 v11, 0, v11, vcc
	v_cmp_eq_u32_e32 vcc, 0, v2
	v_or_b32_e32 v16, 0x800000, v40
	v_cndmask_b32_e32 v11, v11, v55, vcc
	v_add_u32_e32 v3, 0xffffff81, v2
	v_cndmask_b32_e32 v40, v16, v40, vcc
	v_add_u32_e32 v2, 21, v11
	v_cndmask_b32_e32 v22, v3, v54, vcc
	v_lshlrev_b64 v[2:3], v2, -1
	v_lshrrev_b64 v[28:29], v11, v[40:41]
	v_not_b32_e32 v3, v3
	v_not_b32_e32 v2, v2
	v_add_u32_e32 v16, 20, v11
	v_lshrrev_b32_e32 v23, 23, v28
	v_and_b32_e32 v3, 0, v3
	v_and_b32_e32 v2, v40, v2
	v_lshlrev_b64 v[16:17], v16, 1
	v_add3_u32 v23, v11, v22, v23
	v_bfe_u32 v11, v28, 21, 1
	v_add_u32_e32 v11, -1, v11
	v_cmp_eq_u64_e32 vcc, v[2:3], v[16:17]
	v_cndmask_b32_e32 v2, 0, v11, vcc
	v_add_u32_e32 v2, v2, v28
	v_and_b32_e32 v2, 0x1fffff, v2
	v_add_co_u32_e32 v2, vcc, v2, v28
	v_add_u32_e32 v22, 14, v23
	v_addc_co_u32_e32 v3, vcc, 0, v29, vcc
	v_cmp_ne_u32_e32 vcc, 0, v22
                                        ; implicit-def: $vgpr11
	s_and_saveexec_b64 s[16:17], vcc
	s_xor_b64 s[16:17], exec, s[16:17]
; %bb.501:                              ;   in Loop: Header=BB0_381 Depth=2
	v_cmp_lt_u64_e32 vcc, s[42:43], v[2:3]
	v_add_u32_e32 v11, 15, v23
	v_cndmask_b32_e64 v16, 0, 1, vcc
	v_cndmask_b32_e32 v11, v22, v11, vcc
	v_lshrrev_b64 v[2:3], v16, v[2:3]
; %bb.502:                              ;   in Loop: Header=BB0_381 Depth=2
	s_andn2_saveexec_b64 s[16:17], s[16:17]
; %bb.503:                              ;   in Loop: Header=BB0_381 Depth=2
	v_bfe_u32 v11, v2, 23, 1
; %bb.504:                              ;   in Loop: Header=BB0_381 Depth=2
	s_or_b64 exec, exec, s[16:17]
	v_lshrrev_b64 v[2:3], 21, v[2:3]
	v_cmp_gt_i32_e32 vcc, 32, v11
	v_cndmask_b32_e32 v3, 0, v3, vcc
	v_cndmask_b32_e32 v2, 3, v2, vcc
	v_cmp_eq_u64_e64 s[16:17], 0, v[2:3]
	v_min_i32_e32 v3, 31, v11
	v_cmp_eq_u32_e32 vcc, 0, v11
	v_lshlrev_b32_e32 v3, 2, v3
	v_and_or_b32 v2, v2, 3, v3
	s_and_b64 s[16:17], vcc, s[16:17]
	v_cndmask_b32_e64 v2, v2, 0, s[16:17]
	v_or_b32_e32 v11, v2, v10
.LBB0_505:                              ;   in Loop: Header=BB0_381 Depth=2
	s_or_b64 exec, exec, s[50:51]
.LBB0_506:                              ;   in Loop: Header=BB0_381 Depth=2
	s_or_b64 exec, exec, s[48:49]
                                        ; implicit-def: $vgpr2
.LBB0_507:                              ;   in Loop: Header=BB0_381 Depth=2
	s_andn2_saveexec_b64 s[16:17], s[46:47]
; %bb.508:                              ;   in Loop: Header=BB0_381 Depth=2
	v_or_b32_sdwa v2, v2, s68 dst_sel:DWORD dst_unused:UNUSED_PAD src0_sel:BYTE_3 src1_sel:DWORD
	v_cmp_eq_u64_e32 vcc, 0, v[40:41]
	v_cndmask_b32_e32 v11, v2, v11, vcc
; %bb.509:                              ;   in Loop: Header=BB0_381 Depth=2
	s_or_b64 exec, exec, s[16:17]
	v_cmp_ne_u16_sdwa vcc, v4, v41 src0_sel:BYTE_0 src1_sel:DWORD
	v_mov_b32_e32 v2, 0
	v_mov_b32_e32 v3, 0
	s_and_saveexec_b64 s[16:17], vcc
	s_cbranch_execz .LBB0_517
; %bb.510:                              ;   in Loop: Header=BB0_381 Depth=2
	v_cmp_ne_u16_sdwa vcc, sext(v4), s63 src0_sel:BYTE_0 src1_sel:DWORD
	v_bfrev_b32_e32 v3, 1
	s_and_saveexec_b64 s[46:47], vcc
	s_cbranch_execz .LBB0_516
; %bb.511:                              ;   in Loop: Header=BB0_381 Depth=2
	v_and_b32_e32 v3, 0x7c, v4
	v_and_b32_e32 v10, 3, v4
	v_cmp_ne_u32_e32 vcc, s64, v3
                                        ; implicit-def: $vgpr3
	s_and_saveexec_b64 s[48:49], vcc
	s_xor_b64 s[48:49], exec, s[48:49]
	s_cbranch_execz .LBB0_513
; %bb.512:                              ;   in Loop: Header=BB0_381 Depth=2
	v_ffbh_u32_e32 v16, v10
	v_min_u32_e32 v22, 32, v16
	v_bfe_u32 v3, v4, 2, 5
	v_subrev_u32_e32 v16, 29, v22
	v_lshlrev_b64 v[16:17], v16, v[4:5]
	v_sub_u32_e32 v5, 30, v22
	v_cmp_eq_u32_e32 vcc, 0, v3
	v_and_b32_e32 v16, 3, v16
	v_cndmask_b32_e32 v3, v3, v5, vcc
	v_cndmask_b32_e32 v5, v10, v16, vcc
	v_lshlrev_b32_e32 v10, 24, v4
	v_lshl_add_u32 v3, v3, 23, v25
	v_and_or_b32 v3, v10, s65, v3
	v_lshl_or_b32 v3, v5, 21, v3
                                        ; implicit-def: $vgpr10
.LBB0_513:                              ;   in Loop: Header=BB0_381 Depth=2
	s_andn2_saveexec_b64 s[48:49], s[48:49]
; %bb.514:                              ;   in Loop: Header=BB0_381 Depth=2
	v_cmp_gt_i16_sdwa vcc, sext(v4), v30 src0_sel:BYTE_0 src1_sel:DWORD
	v_cndmask_b32_e32 v3, v47, v6, vcc
	v_cmp_eq_u32_e32 vcc, 0, v10
	v_cndmask_b32_e32 v3, v7, v3, vcc
; %bb.515:                              ;   in Loop: Header=BB0_381 Depth=2
	s_or_b64 exec, exec, s[48:49]
.LBB0_516:                              ;   in Loop: Header=BB0_381 Depth=2
	s_or_b64 exec, exec, s[46:47]
.LBB0_517:                              ;   in Loop: Header=BB0_381 Depth=2
	s_or_b64 exec, exec, s[16:17]
	v_alignbit_b32 v40, v31, v32, v27
	v_cmp_ne_u16_sdwa vcc, v40, v41 src0_sel:BYTE_0 src1_sel:DWORD
	s_and_saveexec_b64 s[16:17], vcc
	s_cbranch_execz .LBB0_525
; %bb.518:                              ;   in Loop: Header=BB0_381 Depth=2
	v_cmp_ne_u16_sdwa vcc, sext(v40), s63 src0_sel:BYTE_0 src1_sel:DWORD
	v_bfrev_b32_e32 v2, 1
	s_and_saveexec_b64 s[46:47], vcc
	s_cbranch_execz .LBB0_524
; %bb.519:                              ;   in Loop: Header=BB0_381 Depth=2
	v_and_b32_e32 v2, 0x7c, v40
	v_and_b32_e32 v5, 3, v40
	v_cmp_ne_u32_e32 vcc, s64, v2
                                        ; implicit-def: $vgpr2
	s_and_saveexec_b64 s[48:49], vcc
	s_xor_b64 s[48:49], exec, s[48:49]
	s_cbranch_execz .LBB0_521
; %bb.520:                              ;   in Loop: Header=BB0_381 Depth=2
	v_ffbh_u32_e32 v10, v5
	v_bfe_u32 v2, v40, 2, 5
	v_min_u32_e32 v10, 32, v10
	v_subrev_u32_e32 v16, 29, v10
	v_sub_u32_e32 v10, 30, v10
	v_cmp_eq_u32_e32 vcc, 0, v2
	v_lshlrev_b64 v[16:17], v16, v[40:41]
	v_cndmask_b32_e32 v2, v2, v10, vcc
	v_and_b32_e32 v16, 3, v16
	v_lshlrev_b32_e32 v10, 24, v40
	v_lshl_add_u32 v2, v2, 23, v25
	v_cndmask_b32_e32 v5, v5, v16, vcc
	v_and_or_b32 v2, v10, s65, v2
	v_lshl_or_b32 v2, v5, 21, v2
                                        ; implicit-def: $vgpr5
.LBB0_521:                              ;   in Loop: Header=BB0_381 Depth=2
	s_andn2_saveexec_b64 s[48:49], s[48:49]
; %bb.522:                              ;   in Loop: Header=BB0_381 Depth=2
	v_cmp_gt_i16_sdwa vcc, sext(v40), v30 src0_sel:BYTE_0 src1_sel:DWORD
	v_cndmask_b32_e32 v2, v47, v6, vcc
	v_cmp_eq_u32_e32 vcc, 0, v5
	v_cndmask_b32_e32 v2, v7, v2, vcc
; %bb.523:                              ;   in Loop: Header=BB0_381 Depth=2
	s_or_b64 exec, exec, s[48:49]
.LBB0_524:                              ;   in Loop: Header=BB0_381 Depth=2
	s_or_b64 exec, exec, s[46:47]
.LBB0_525:                              ;   in Loop: Header=BB0_381 Depth=2
	s_or_b64 exec, exec, s[16:17]
	v_mul_f32_e32 v27, v3, v2
	v_and_b32_sdwa v10, v27, s66 dst_sel:DWORD dst_unused:UNUSED_PAD src0_sel:BYTE_3 src1_sel:DWORD
	v_and_b32_e32 v16, 0x7f800000, v27
	v_mov_b32_e32 v17, v41
	v_and_b32_e32 v2, 0x7fffff, v27
	v_mov_b32_e32 v3, v41
	v_or_b32_e32 v5, 0x7b, v10
	v_cmp_ne_u64_e32 vcc, s[38:39], v[16:17]
	s_and_saveexec_b64 s[16:17], vcc
	s_xor_b64 s[46:47], exec, s[16:17]
	s_cbranch_execz .LBB0_535
; %bb.526:                              ;   in Loop: Header=BB0_381 Depth=2
	v_and_b32_e32 v16, 0x7fffffff, v27
	v_mov_b32_e32 v17, v41
	v_cmp_gt_u64_e32 vcc, s[40:41], v[16:17]
	s_and_saveexec_b64 s[48:49], vcc
	s_cbranch_execz .LBB0_534
; %bb.527:                              ;   in Loop: Header=BB0_381 Depth=2
	v_cmp_ne_u32_e32 vcc, 0, v27
	v_mov_b32_e32 v5, 0
	s_and_saveexec_b64 s[50:51], vcc
	s_cbranch_execz .LBB0_533
; %bb.528:                              ;   in Loop: Header=BB0_381 Depth=2
	v_bfe_u32 v5, v27, 23, 8
	v_sub_u32_e32 v17, 0x71, v5
	v_cmp_gt_u32_e32 vcc, s67, v5
	v_cndmask_b32_e32 v17, 0, v17, vcc
	v_cmp_eq_u32_e32 vcc, 0, v5
	v_add_u32_e32 v16, 0xffffff81, v5
	v_cndmask_b32_e32 v23, v17, v55, vcc
	v_cndmask_b32_e32 v5, v16, v54, vcc
	v_add_u32_e32 v16, 21, v23
	v_or_b32_e32 v22, 0x800000, v2
	v_lshlrev_b64 v[16:17], v16, -1
	v_cndmask_b32_e32 v2, v22, v2, vcc
	v_not_b32_e32 v16, v16
	v_and_b32_e32 v16, v2, v16
	v_add_u32_e32 v22, 20, v23
	v_lshrrev_b64 v[2:3], v23, v[2:3]
	v_not_b32_e32 v17, v17
	v_lshlrev_b64 v[28:29], v22, 1
	v_lshrrev_b32_e32 v22, 23, v2
	v_and_b32_e32 v17, 0, v17
	v_add3_u32 v23, v23, v5, v22
	v_bfe_u32 v5, v2, 21, 1
	v_add_u32_e32 v5, -1, v5
	v_cmp_eq_u64_e32 vcc, v[16:17], v[28:29]
	v_cndmask_b32_e32 v5, 0, v5, vcc
	v_add_u32_e32 v5, v5, v2
	v_and_b32_e32 v5, 0x1fffff, v5
	v_add_co_u32_e32 v2, vcc, v5, v2
	v_add_u32_e32 v22, 14, v23
	v_addc_co_u32_e32 v3, vcc, 0, v3, vcc
	v_cmp_ne_u32_e32 vcc, 0, v22
                                        ; implicit-def: $vgpr5
	s_and_saveexec_b64 s[16:17], vcc
	s_xor_b64 s[16:17], exec, s[16:17]
; %bb.529:                              ;   in Loop: Header=BB0_381 Depth=2
	v_cmp_lt_u64_e32 vcc, s[42:43], v[2:3]
	v_add_u32_e32 v5, 15, v23
	v_cndmask_b32_e64 v16, 0, 1, vcc
	v_cndmask_b32_e32 v5, v22, v5, vcc
	v_lshrrev_b64 v[2:3], v16, v[2:3]
; %bb.530:                              ;   in Loop: Header=BB0_381 Depth=2
	s_andn2_saveexec_b64 s[16:17], s[16:17]
; %bb.531:                              ;   in Loop: Header=BB0_381 Depth=2
	v_bfe_u32 v5, v2, 23, 1
; %bb.532:                              ;   in Loop: Header=BB0_381 Depth=2
	s_or_b64 exec, exec, s[16:17]
	v_lshrrev_b64 v[2:3], 21, v[2:3]
	v_cmp_gt_i32_e32 vcc, 32, v5
	v_cndmask_b32_e32 v3, 0, v3, vcc
	v_cndmask_b32_e32 v2, 3, v2, vcc
	v_cmp_eq_u64_e64 s[16:17], 0, v[2:3]
	v_min_i32_e32 v3, 31, v5
	v_cmp_eq_u32_e32 vcc, 0, v5
	v_lshlrev_b32_e32 v3, 2, v3
	v_and_or_b32 v2, v2, 3, v3
	s_and_b64 s[16:17], vcc, s[16:17]
	v_cndmask_b32_e64 v2, v2, 0, s[16:17]
	v_or_b32_e32 v5, v2, v10
.LBB0_533:                              ;   in Loop: Header=BB0_381 Depth=2
	s_or_b64 exec, exec, s[50:51]
.LBB0_534:                              ;   in Loop: Header=BB0_381 Depth=2
	s_or_b64 exec, exec, s[48:49]
                                        ; implicit-def: $vgpr27
                                        ; implicit-def: $vgpr2_vgpr3
.LBB0_535:                              ;   in Loop: Header=BB0_381 Depth=2
	s_andn2_saveexec_b64 s[16:17], s[46:47]
; %bb.536:                              ;   in Loop: Header=BB0_381 Depth=2
	v_or_b32_sdwa v10, v27, s68 dst_sel:DWORD dst_unused:UNUSED_PAD src0_sel:BYTE_3 src1_sel:DWORD
	v_cmp_eq_u64_e32 vcc, 0, v[2:3]
	v_cndmask_b32_e32 v5, v10, v5, vcc
; %bb.537:                              ;   in Loop: Header=BB0_381 Depth=2
	s_or_b64 exec, exec, s[16:17]
	v_lshrrev_b16_e32 v2, 8, v4
	v_cmp_ne_u16_e32 vcc, 0, v2
	v_mov_b32_e32 v10, 0
	v_mov_b32_e32 v27, 0
	s_and_saveexec_b64 s[16:17], vcc
	s_cbranch_execz .LBB0_545
; %bb.538:                              ;   in Loop: Header=BB0_381 Depth=2
	v_cmp_ne_u16_e32 vcc, s66, v2
	v_bfrev_b32_e32 v27, 1
	s_and_saveexec_b64 s[46:47], vcc
	s_cbranch_execz .LBB0_544
; %bb.539:                              ;   in Loop: Header=BB0_381 Depth=2
	v_and_b32_e32 v3, 0x7c, v2
	v_and_b32_e32 v22, 3, v2
	v_cmp_ne_u32_e32 vcc, s64, v3
                                        ; implicit-def: $vgpr27
	s_and_saveexec_b64 s[48:49], vcc
	s_xor_b64 s[48:49], exec, s[48:49]
	s_cbranch_execz .LBB0_541
; %bb.540:                              ;   in Loop: Header=BB0_381 Depth=2
	v_ffbh_u32_e32 v17, v22
	v_min_u32_e32 v17, 32, v17
	v_mov_b32_e32 v3, v41
	v_subrev_u32_e32 v23, 29, v17
	v_bfe_u32 v16, v2, 2, 5
	v_lshlrev_b64 v[2:3], v23, v[2:3]
	v_sub_u32_e32 v3, 30, v17
	v_cmp_eq_u32_e32 vcc, 0, v16
	v_cndmask_b32_e32 v3, v16, v3, vcc
	v_and_b32_e32 v2, 3, v2
	v_lshlrev_b32_e32 v16, 16, v4
	v_lshl_add_u32 v3, v3, 23, v25
	v_cndmask_b32_e32 v2, v22, v2, vcc
	v_and_or_b32 v3, v16, s65, v3
	v_lshl_or_b32 v27, v2, 21, v3
                                        ; implicit-def: $vgpr22
.LBB0_541:                              ;   in Loop: Header=BB0_381 Depth=2
	s_andn2_saveexec_b64 s[48:49], s[48:49]
; %bb.542:                              ;   in Loop: Header=BB0_381 Depth=2
	v_cmp_lt_i16_e32 vcc, -1, v4
	v_cndmask_b32_e32 v2, v47, v6, vcc
	v_cmp_eq_u32_e32 vcc, 0, v22
	v_cndmask_b32_e32 v27, v7, v2, vcc
; %bb.543:                              ;   in Loop: Header=BB0_381 Depth=2
	s_or_b64 exec, exec, s[48:49]
.LBB0_544:                              ;   in Loop: Header=BB0_381 Depth=2
	s_or_b64 exec, exec, s[46:47]
.LBB0_545:                              ;   in Loop: Header=BB0_381 Depth=2
	s_or_b64 exec, exec, s[16:17]
	v_lshrrev_b16_e32 v2, 8, v40
	v_cmp_ne_u16_e32 vcc, 0, v2
	s_and_saveexec_b64 s[16:17], vcc
	s_cbranch_execz .LBB0_553
; %bb.546:                              ;   in Loop: Header=BB0_381 Depth=2
	v_cmp_ne_u16_e32 vcc, s66, v2
	v_bfrev_b32_e32 v10, 1
	s_and_saveexec_b64 s[46:47], vcc
	s_cbranch_execz .LBB0_552
; %bb.547:                              ;   in Loop: Header=BB0_381 Depth=2
	v_and_b32_e32 v3, 0x7c, v2
	v_and_b32_e32 v22, 3, v2
	v_cmp_ne_u32_e32 vcc, s64, v3
                                        ; implicit-def: $vgpr10
	s_and_saveexec_b64 s[48:49], vcc
	s_xor_b64 s[48:49], exec, s[48:49]
	s_cbranch_execz .LBB0_549
; %bb.548:                              ;   in Loop: Header=BB0_381 Depth=2
	v_ffbh_u32_e32 v16, v22
	v_min_u32_e32 v16, 32, v16
	v_mov_b32_e32 v3, v41
	v_subrev_u32_e32 v17, 29, v16
	v_bfe_u32 v10, v2, 2, 5
	v_lshlrev_b64 v[2:3], v17, v[2:3]
	v_sub_u32_e32 v3, 30, v16
	v_cmp_eq_u32_e32 vcc, 0, v10
	v_cndmask_b32_e32 v3, v10, v3, vcc
	v_and_b32_e32 v2, 3, v2
	v_lshlrev_b32_e32 v10, 16, v40
	v_lshl_add_u32 v3, v3, 23, v25
	v_cndmask_b32_e32 v2, v22, v2, vcc
	v_and_or_b32 v3, v10, s65, v3
	v_lshl_or_b32 v10, v2, 21, v3
                                        ; implicit-def: $vgpr22
.LBB0_549:                              ;   in Loop: Header=BB0_381 Depth=2
	s_andn2_saveexec_b64 s[48:49], s[48:49]
; %bb.550:                              ;   in Loop: Header=BB0_381 Depth=2
	v_cmp_lt_i16_e32 vcc, -1, v40
	v_cndmask_b32_e32 v2, v47, v6, vcc
	v_cmp_eq_u32_e32 vcc, 0, v22
	v_cndmask_b32_e32 v10, v7, v2, vcc
; %bb.551:                              ;   in Loop: Header=BB0_381 Depth=2
	s_or_b64 exec, exec, s[48:49]
.LBB0_552:                              ;   in Loop: Header=BB0_381 Depth=2
	s_or_b64 exec, exec, s[46:47]
.LBB0_553:                              ;   in Loop: Header=BB0_381 Depth=2
	s_or_b64 exec, exec, s[16:17]
	v_mul_f32_e32 v28, v27, v10
	v_and_b32_sdwa v10, v28, s66 dst_sel:DWORD dst_unused:UNUSED_PAD src0_sel:BYTE_3 src1_sel:DWORD
	v_and_b32_e32 v16, 0x7f800000, v28
	v_mov_b32_e32 v17, v41
	v_and_b32_e32 v2, 0x7fffff, v28
	v_mov_b32_e32 v3, v41
	v_or_b32_e32 v27, 0x7b, v10
	v_cmp_ne_u64_e32 vcc, s[38:39], v[16:17]
	s_and_saveexec_b64 s[16:17], vcc
	s_xor_b64 s[46:47], exec, s[16:17]
	s_cbranch_execz .LBB0_563
; %bb.554:                              ;   in Loop: Header=BB0_381 Depth=2
	v_and_b32_e32 v16, 0x7fffffff, v28
	v_mov_b32_e32 v17, v41
	v_cmp_gt_u64_e32 vcc, s[40:41], v[16:17]
	s_and_saveexec_b64 s[48:49], vcc
	s_cbranch_execz .LBB0_562
; %bb.555:                              ;   in Loop: Header=BB0_381 Depth=2
	v_cmp_ne_u32_e32 vcc, 0, v28
	v_mov_b32_e32 v27, 0
	s_and_saveexec_b64 s[50:51], vcc
	s_cbranch_execz .LBB0_561
; %bb.556:                              ;   in Loop: Header=BB0_381 Depth=2
	v_bfe_u32 v16, v28, 23, 8
	v_sub_u32_e32 v22, 0x71, v16
	v_cmp_gt_u32_e32 vcc, s67, v16
	v_cndmask_b32_e32 v22, 0, v22, vcc
	v_cmp_eq_u32_e32 vcc, 0, v16
	v_cndmask_b32_e32 v22, v22, v55, vcc
	v_add_u32_e32 v17, 0xffffff81, v16
	v_add_u32_e32 v16, 21, v22
	v_or_b32_e32 v23, 0x800000, v2
	v_cndmask_b32_e32 v27, v17, v54, vcc
	v_lshlrev_b64 v[16:17], v16, -1
	v_cndmask_b32_e32 v2, v23, v2, vcc
	v_not_b32_e32 v16, v16
	v_and_b32_e32 v16, v2, v16
	v_add_u32_e32 v23, 20, v22
	v_lshrrev_b64 v[2:3], v22, v[2:3]
	v_not_b32_e32 v17, v17
	v_lshlrev_b64 v[28:29], v23, 1
	v_lshrrev_b32_e32 v23, 23, v2
	v_and_b32_e32 v17, 0, v17
	v_add3_u32 v23, v22, v27, v23
	v_bfe_u32 v27, v2, 21, 1
	v_add_u32_e32 v27, -1, v27
	v_cmp_eq_u64_e32 vcc, v[16:17], v[28:29]
	v_cndmask_b32_e32 v16, 0, v27, vcc
	v_add_u32_e32 v16, v16, v2
	v_and_b32_e32 v16, 0x1fffff, v16
	v_add_co_u32_e32 v2, vcc, v16, v2
	v_add_u32_e32 v22, 14, v23
	v_addc_co_u32_e32 v3, vcc, 0, v3, vcc
	v_cmp_ne_u32_e32 vcc, 0, v22
                                        ; implicit-def: $vgpr27
	s_and_saveexec_b64 s[16:17], vcc
	s_xor_b64 s[16:17], exec, s[16:17]
; %bb.557:                              ;   in Loop: Header=BB0_381 Depth=2
	v_add_u32_e32 v16, 15, v23
	v_cmp_lt_u64_e32 vcc, s[42:43], v[2:3]
	v_cndmask_b32_e32 v27, v22, v16, vcc
	v_cndmask_b32_e64 v16, 0, 1, vcc
	v_lshrrev_b64 v[2:3], v16, v[2:3]
; %bb.558:                              ;   in Loop: Header=BB0_381 Depth=2
	s_andn2_saveexec_b64 s[16:17], s[16:17]
; %bb.559:                              ;   in Loop: Header=BB0_381 Depth=2
	v_bfe_u32 v27, v2, 23, 1
; %bb.560:                              ;   in Loop: Header=BB0_381 Depth=2
	s_or_b64 exec, exec, s[16:17]
	v_lshrrev_b64 v[2:3], 21, v[2:3]
	v_cmp_gt_i32_e32 vcc, 32, v27
	v_cndmask_b32_e32 v3, 0, v3, vcc
	v_cndmask_b32_e32 v2, 3, v2, vcc
	v_cmp_eq_u64_e64 s[16:17], 0, v[2:3]
	v_min_i32_e32 v3, 31, v27
	v_cmp_eq_u32_e32 vcc, 0, v27
	v_lshlrev_b32_e32 v3, 2, v3
	v_and_or_b32 v2, v2, 3, v3
	s_and_b64 s[16:17], vcc, s[16:17]
	v_cndmask_b32_e64 v2, v2, 0, s[16:17]
	v_or_b32_e32 v27, v2, v10
.LBB0_561:                              ;   in Loop: Header=BB0_381 Depth=2
	s_or_b64 exec, exec, s[50:51]
.LBB0_562:                              ;   in Loop: Header=BB0_381 Depth=2
	s_or_b64 exec, exec, s[48:49]
                                        ; implicit-def: $vgpr28
                                        ; implicit-def: $vgpr2_vgpr3
.LBB0_563:                              ;   in Loop: Header=BB0_381 Depth=2
	s_andn2_saveexec_b64 s[16:17], s[46:47]
; %bb.564:                              ;   in Loop: Header=BB0_381 Depth=2
	v_or_b32_sdwa v10, v28, s68 dst_sel:DWORD dst_unused:UNUSED_PAD src0_sel:BYTE_3 src1_sel:DWORD
	v_cmp_eq_u64_e32 vcc, 0, v[2:3]
	v_cndmask_b32_e32 v27, v10, v27, vcc
; %bb.565:                              ;   in Loop: Header=BB0_381 Depth=2
	s_or_b64 exec, exec, s[16:17]
	v_lshrrev_b32_e32 v2, 16, v4
	v_cmp_ne_u16_sdwa vcc, v2, v41 src0_sel:BYTE_0 src1_sel:DWORD
	v_mov_b32_e32 v3, 0
	v_mov_b32_e32 v10, 0
	s_and_saveexec_b64 s[16:17], vcc
	s_cbranch_execz .LBB0_573
; %bb.566:                              ;   in Loop: Header=BB0_381 Depth=2
	v_cmp_ne_u16_sdwa vcc, v2, s66 src0_sel:BYTE_0 src1_sel:DWORD
	v_bfrev_b32_e32 v10, 1
	s_and_saveexec_b64 s[46:47], vcc
	s_cbranch_execz .LBB0_572
; %bb.567:                              ;   in Loop: Header=BB0_381 Depth=2
	v_and_b32_e32 v10, 0x7c0000, v4
	v_bfe_u32 v28, v4, 16, 2
	v_cmp_ne_u32_e32 vcc, s69, v10
                                        ; implicit-def: $vgpr10
	s_and_saveexec_b64 s[48:49], vcc
	s_xor_b64 s[48:49], exec, s[48:49]
	s_cbranch_execz .LBB0_569
; %bb.568:                              ;   in Loop: Header=BB0_381 Depth=2
	v_ffbh_u32_e32 v16, v28
	v_min_u32_e32 v22, 32, v16
	v_bfe_u32 v10, v4, 18, 5
	v_subrev_u32_e32 v16, 29, v22
	v_lshlrev_b64 v[16:17], v16, v[2:3]
	v_sub_u32_e32 v2, 30, v22
	v_cmp_eq_u32_e32 vcc, 0, v10
	v_and_b32_e32 v16, 3, v16
	v_cndmask_b32_e32 v2, v10, v2, vcc
	v_cndmask_b32_e32 v10, v28, v16, vcc
	v_lshlrev_b32_e32 v16, 8, v4
	v_lshl_add_u32 v2, v2, 23, v25
	v_and_or_b32 v2, v16, s65, v2
	v_lshl_or_b32 v10, v10, 21, v2
                                        ; implicit-def: $vgpr28
                                        ; implicit-def: $vgpr2
.LBB0_569:                              ;   in Loop: Header=BB0_381 Depth=2
	s_andn2_saveexec_b64 s[48:49], s[48:49]
; %bb.570:                              ;   in Loop: Header=BB0_381 Depth=2
	v_cmp_gt_i16_sdwa vcc, sext(v2), v30 src0_sel:BYTE_0 src1_sel:DWORD
	v_cndmask_b32_e32 v2, v47, v6, vcc
	v_cmp_eq_u32_e32 vcc, 0, v28
	v_cndmask_b32_e32 v10, v7, v2, vcc
; %bb.571:                              ;   in Loop: Header=BB0_381 Depth=2
	s_or_b64 exec, exec, s[48:49]
.LBB0_572:                              ;   in Loop: Header=BB0_381 Depth=2
	s_or_b64 exec, exec, s[46:47]
.LBB0_573:                              ;   in Loop: Header=BB0_381 Depth=2
	s_or_b64 exec, exec, s[16:17]
	v_and_b32_sdwa v22, v40, s62 dst_sel:DWORD dst_unused:UNUSED_PAD src0_sel:WORD_1 src1_sel:DWORD
	v_lshrrev_b32_e32 v2, 16, v40
	v_cmp_ne_u16_e32 vcc, 0, v22
	s_and_saveexec_b64 s[16:17], vcc
	s_cbranch_execz .LBB0_581
; %bb.574:                              ;   in Loop: Header=BB0_381 Depth=2
	v_cmp_ne_u16_e32 vcc, s66, v22
	v_bfrev_b32_e32 v3, 1
	s_and_saveexec_b64 s[46:47], vcc
	s_cbranch_execz .LBB0_580
; %bb.575:                              ;   in Loop: Header=BB0_381 Depth=2
	v_and_b32_e32 v3, 0x7c0000, v40
	v_bfe_u32 v28, v40, 16, 2
	v_cmp_ne_u32_e32 vcc, s69, v3
                                        ; implicit-def: $vgpr3
	s_and_saveexec_b64 s[48:49], vcc
	s_xor_b64 s[48:49], exec, s[48:49]
	s_cbranch_execz .LBB0_577
; %bb.576:                              ;   in Loop: Header=BB0_381 Depth=2
	v_ffbh_u32_e32 v3, v28
	v_min_u32_e32 v17, 32, v3
	v_subrev_u32_e32 v3, 29, v17
	v_bfe_u32 v16, v40, 18, 5
	v_lshlrev_b64 v[2:3], v3, v[2:3]
	v_sub_u32_e32 v3, 30, v17
	v_cmp_eq_u32_e32 vcc, 0, v16
	v_cndmask_b32_e32 v3, v16, v3, vcc
	v_and_b32_e32 v2, 3, v2
	v_lshlrev_b32_e32 v16, 8, v40
	v_lshl_add_u32 v3, v3, 23, v25
	v_cndmask_b32_e32 v2, v28, v2, vcc
	v_and_or_b32 v3, v16, s65, v3
	v_lshl_or_b32 v3, v2, 21, v3
                                        ; implicit-def: $vgpr28
                                        ; implicit-def: $vgpr2
.LBB0_577:                              ;   in Loop: Header=BB0_381 Depth=2
	s_andn2_saveexec_b64 s[48:49], s[48:49]
; %bb.578:                              ;   in Loop: Header=BB0_381 Depth=2
	v_cmp_gt_i16_sdwa vcc, sext(v2), v30 src0_sel:BYTE_0 src1_sel:DWORD
	v_cndmask_b32_e32 v2, v47, v6, vcc
	v_cmp_eq_u32_e32 vcc, 0, v28
	v_cndmask_b32_e32 v3, v7, v2, vcc
; %bb.579:                              ;   in Loop: Header=BB0_381 Depth=2
	s_or_b64 exec, exec, s[48:49]
.LBB0_580:                              ;   in Loop: Header=BB0_381 Depth=2
	s_or_b64 exec, exec, s[46:47]
.LBB0_581:                              ;   in Loop: Header=BB0_381 Depth=2
	s_or_b64 exec, exec, s[16:17]
	v_mul_f32_e32 v29, v10, v3
	v_and_b32_sdwa v10, v29, s66 dst_sel:DWORD dst_unused:UNUSED_PAD src0_sel:BYTE_3 src1_sel:DWORD
	v_and_b32_e32 v16, 0x7f800000, v29
	v_mov_b32_e32 v17, v41
	v_and_b32_e32 v2, 0x7fffff, v29
	v_mov_b32_e32 v3, v41
	v_or_b32_e32 v28, 0x7b, v10
	v_cmp_ne_u64_e32 vcc, s[38:39], v[16:17]
	s_and_saveexec_b64 s[16:17], vcc
	s_xor_b64 s[46:47], exec, s[16:17]
	s_cbranch_execz .LBB0_591
; %bb.582:                              ;   in Loop: Header=BB0_381 Depth=2
	v_and_b32_e32 v16, 0x7fffffff, v29
	v_mov_b32_e32 v17, v41
	v_cmp_gt_u64_e32 vcc, s[40:41], v[16:17]
	s_and_saveexec_b64 s[48:49], vcc
	s_cbranch_execz .LBB0_590
; %bb.583:                              ;   in Loop: Header=BB0_381 Depth=2
	v_cmp_ne_u32_e32 vcc, 0, v29
	v_mov_b32_e32 v28, 0
	s_and_saveexec_b64 s[50:51], vcc
	s_cbranch_execz .LBB0_589
; %bb.584:                              ;   in Loop: Header=BB0_381 Depth=2
	v_bfe_u32 v16, v29, 23, 8
	v_sub_u32_e32 v22, 0x71, v16
	v_cmp_gt_u32_e32 vcc, s67, v16
	v_cndmask_b32_e32 v22, 0, v22, vcc
	v_cmp_eq_u32_e32 vcc, 0, v16
	v_cndmask_b32_e32 v22, v22, v55, vcc
	v_add_u32_e32 v17, 0xffffff81, v16
	v_add_u32_e32 v16, 21, v22
	v_or_b32_e32 v23, 0x800000, v2
	v_cndmask_b32_e32 v31, v17, v54, vcc
	v_lshlrev_b64 v[16:17], v16, -1
	v_cndmask_b32_e32 v2, v23, v2, vcc
	v_not_b32_e32 v16, v16
	v_and_b32_e32 v16, v2, v16
	v_add_u32_e32 v23, 20, v22
	v_lshrrev_b64 v[2:3], v22, v[2:3]
	v_not_b32_e32 v17, v17
	v_lshlrev_b64 v[28:29], v23, 1
	v_lshrrev_b32_e32 v23, 23, v2
	v_and_b32_e32 v17, 0, v17
	v_add3_u32 v23, v22, v31, v23
	v_bfe_u32 v31, v2, 21, 1
	v_add_u32_e32 v31, -1, v31
	v_cmp_eq_u64_e32 vcc, v[16:17], v[28:29]
	v_cndmask_b32_e32 v16, 0, v31, vcc
	v_add_u32_e32 v16, v16, v2
	v_and_b32_e32 v16, 0x1fffff, v16
	v_add_co_u32_e32 v2, vcc, v16, v2
	v_add_u32_e32 v22, 14, v23
	v_addc_co_u32_e32 v3, vcc, 0, v3, vcc
	v_cmp_ne_u32_e32 vcc, 0, v22
                                        ; implicit-def: $vgpr28
	s_and_saveexec_b64 s[16:17], vcc
	s_xor_b64 s[16:17], exec, s[16:17]
; %bb.585:                              ;   in Loop: Header=BB0_381 Depth=2
	v_add_u32_e32 v16, 15, v23
	v_cmp_lt_u64_e32 vcc, s[42:43], v[2:3]
	v_cndmask_b32_e32 v28, v22, v16, vcc
	v_cndmask_b32_e64 v16, 0, 1, vcc
	v_lshrrev_b64 v[2:3], v16, v[2:3]
; %bb.586:                              ;   in Loop: Header=BB0_381 Depth=2
	s_andn2_saveexec_b64 s[16:17], s[16:17]
; %bb.587:                              ;   in Loop: Header=BB0_381 Depth=2
	v_bfe_u32 v28, v2, 23, 1
; %bb.588:                              ;   in Loop: Header=BB0_381 Depth=2
	s_or_b64 exec, exec, s[16:17]
	v_lshrrev_b64 v[2:3], 21, v[2:3]
	v_cmp_gt_i32_e32 vcc, 32, v28
	v_cndmask_b32_e32 v3, 0, v3, vcc
	v_cndmask_b32_e32 v2, 3, v2, vcc
	v_cmp_eq_u64_e64 s[16:17], 0, v[2:3]
	v_min_i32_e32 v3, 31, v28
	v_lshlrev_b32_e32 v3, 2, v3
	v_cmp_eq_u32_e32 vcc, 0, v28
	v_and_b32_e32 v3, 0xfc, v3
	v_and_or_b32 v2, v2, 3, v3
	s_and_b64 s[16:17], vcc, s[16:17]
	v_cndmask_b32_e64 v2, v2, 0, s[16:17]
	v_or_b32_e32 v28, v2, v10
.LBB0_589:                              ;   in Loop: Header=BB0_381 Depth=2
	s_or_b64 exec, exec, s[50:51]
.LBB0_590:                              ;   in Loop: Header=BB0_381 Depth=2
	s_or_b64 exec, exec, s[48:49]
                                        ; implicit-def: $vgpr29
                                        ; implicit-def: $vgpr2_vgpr3
.LBB0_591:                              ;   in Loop: Header=BB0_381 Depth=2
	s_andn2_saveexec_b64 s[16:17], s[46:47]
; %bb.592:                              ;   in Loop: Header=BB0_381 Depth=2
	v_or_b32_sdwa v10, v29, s68 dst_sel:DWORD dst_unused:UNUSED_PAD src0_sel:BYTE_3 src1_sel:DWORD
	v_cmp_eq_u64_e32 vcc, 0, v[2:3]
	v_cndmask_b32_e32 v28, v10, v28, vcc
; %bb.593:                              ;   in Loop: Header=BB0_381 Depth=2
	s_or_b64 exec, exec, s[16:17]
	v_mov_b32_e32 v2, v41
	v_mov_b32_e32 v3, v4
	v_cmp_lt_u64_e32 vcc, s[36:37], v[2:3]
	v_mov_b32_e32 v29, 0
	v_mov_b32_e32 v31, 0
	s_and_saveexec_b64 s[16:17], vcc
	s_cbranch_execz .LBB0_601
; %bb.594:                              ;   in Loop: Header=BB0_381 Depth=2
	v_lshrrev_b32_e32 v10, 24, v4
	v_cmp_ne_u32_e32 vcc, s66, v10
	v_bfrev_b32_e32 v31, 1
	s_and_saveexec_b64 s[46:47], vcc
	s_cbranch_execz .LBB0_600
; %bb.595:                              ;   in Loop: Header=BB0_381 Depth=2
	v_and_b32_e32 v16, 0x7c000000, v4
	v_bfe_u32 v32, v4, 24, 2
	v_cmp_ne_u32_e32 vcc, s70, v16
                                        ; implicit-def: $vgpr31
	s_and_saveexec_b64 s[48:49], vcc
	s_xor_b64 s[48:49], exec, s[48:49]
	s_cbranch_execz .LBB0_597
; %bb.596:                              ;   in Loop: Header=BB0_381 Depth=2
	v_ffbh_u32_e32 v2, v32
	v_min_u32_e32 v17, 32, v2
	v_subrev_u32_e32 v2, 29, v17
	v_bfe_u32 v16, v4, 26, 5
	v_lshlrev_b64 v[2:3], v2, v[10:11]
	v_sub_u32_e32 v3, 30, v17
	v_cmp_eq_u32_e32 vcc, 0, v16
	v_cndmask_b32_e32 v3, v16, v3, vcc
	v_and_b32_e32 v2, 3, v2
	v_lshl_add_u32 v3, v3, 23, v25
	v_cndmask_b32_e32 v2, v32, v2, vcc
	v_and_or_b32 v3, v4, s65, v3
	v_lshl_or_b32 v31, v2, 21, v3
                                        ; implicit-def: $vgpr32
                                        ; implicit-def: $vgpr2_vgpr3
.LBB0_597:                              ;   in Loop: Header=BB0_381 Depth=2
	s_andn2_saveexec_b64 s[48:49], s[48:49]
; %bb.598:                              ;   in Loop: Header=BB0_381 Depth=2
	v_cmp_lt_i64_e32 vcc, -1, v[2:3]
	v_cndmask_b32_e32 v2, v47, v6, vcc
	v_cmp_eq_u32_e32 vcc, 0, v32
	v_cndmask_b32_e32 v31, v7, v2, vcc
; %bb.599:                              ;   in Loop: Header=BB0_381 Depth=2
	s_or_b64 exec, exec, s[48:49]
.LBB0_600:                              ;   in Loop: Header=BB0_381 Depth=2
	s_or_b64 exec, exec, s[46:47]
.LBB0_601:                              ;   in Loop: Header=BB0_381 Depth=2
	s_or_b64 exec, exec, s[16:17]
	v_cmp_lt_u32_e32 vcc, s37, v40
	s_and_saveexec_b64 s[16:17], vcc
	s_cbranch_execz .LBB0_609
; %bb.602:                              ;   in Loop: Header=BB0_381 Depth=2
	v_lshrrev_b32_e32 v2, 24, v40
	v_cmp_ne_u32_e32 vcc, s66, v2
	v_bfrev_b32_e32 v29, 1
	s_and_saveexec_b64 s[46:47], vcc
	s_cbranch_execz .LBB0_608
; %bb.603:                              ;   in Loop: Header=BB0_381 Depth=2
	v_and_b32_e32 v4, 0x7c000000, v40
	v_bfe_u32 v3, v40, 24, 2
	v_cmp_ne_u32_e32 vcc, s70, v4
                                        ; implicit-def: $vgpr29
	s_and_saveexec_b64 s[48:49], vcc
	s_xor_b64 s[48:49], exec, s[48:49]
	s_cbranch_execz .LBB0_605
; %bb.604:                              ;   in Loop: Header=BB0_381 Depth=2
	v_ffbh_u32_e32 v10, v3
	v_min_u32_e32 v10, 32, v10
	v_bfe_u32 v4, v40, 26, 5
	v_subrev_u32_e32 v16, 29, v10
	v_lshlrev_b64 v[16:17], v16, v[2:3]
	v_sub_u32_e32 v2, 30, v10
	v_cmp_eq_u32_e32 vcc, 0, v4
	v_cndmask_b32_e32 v2, v4, v2, vcc
	v_and_b32_e32 v10, 3, v16
	v_lshl_add_u32 v2, v2, 23, v25
	v_cndmask_b32_e32 v3, v3, v10, vcc
	v_and_or_b32 v2, v40, s65, v2
	v_lshl_or_b32 v29, v3, 21, v2
                                        ; implicit-def: $vgpr3
.LBB0_605:                              ;   in Loop: Header=BB0_381 Depth=2
	s_andn2_saveexec_b64 s[48:49], s[48:49]
; %bb.606:                              ;   in Loop: Header=BB0_381 Depth=2
	v_cmp_lt_i32_e32 vcc, -1, v40
	v_cndmask_b32_e32 v2, v47, v6, vcc
	v_cmp_eq_u32_e32 vcc, 0, v3
	v_cndmask_b32_e32 v29, v7, v2, vcc
; %bb.607:                              ;   in Loop: Header=BB0_381 Depth=2
	s_or_b64 exec, exec, s[48:49]
.LBB0_608:                              ;   in Loop: Header=BB0_381 Depth=2
	s_or_b64 exec, exec, s[46:47]
.LBB0_609:                              ;   in Loop: Header=BB0_381 Depth=2
	s_or_b64 exec, exec, s[16:17]
	v_mul_f32_e32 v3, v31, v29
	v_and_b32_sdwa v4, v3, s66 dst_sel:DWORD dst_unused:UNUSED_PAD src0_sel:BYTE_3 src1_sel:DWORD
	v_and_b32_e32 v16, 0x7f800000, v3
	v_mov_b32_e32 v17, v41
	v_and_b32_e32 v40, 0x7fffff, v3
	v_or_b32_e32 v2, 0x7b, v4
	v_cmp_ne_u64_e32 vcc, s[38:39], v[16:17]
	s_and_saveexec_b64 s[16:17], vcc
	s_xor_b64 s[46:47], exec, s[16:17]
	s_cbranch_execz .LBB0_619
; %bb.610:                              ;   in Loop: Header=BB0_381 Depth=2
	v_and_b32_e32 v16, 0x7fffffff, v3
	v_mov_b32_e32 v17, v41
	v_cmp_gt_u64_e32 vcc, s[40:41], v[16:17]
	s_and_saveexec_b64 s[48:49], vcc
	s_cbranch_execz .LBB0_618
; %bb.611:                              ;   in Loop: Header=BB0_381 Depth=2
	v_cmp_ne_u32_e32 vcc, 0, v3
	v_mov_b32_e32 v2, 0
	s_and_saveexec_b64 s[50:51], vcc
	s_cbranch_execz .LBB0_617
; %bb.612:                              ;   in Loop: Header=BB0_381 Depth=2
	v_bfe_u32 v2, v3, 23, 8
	v_sub_u32_e32 v10, 0x71, v2
	v_cmp_gt_u32_e32 vcc, s67, v2
	v_cndmask_b32_e32 v10, 0, v10, vcc
	v_cmp_eq_u32_e32 vcc, 0, v2
	v_or_b32_e32 v16, 0x800000, v40
	v_cndmask_b32_e32 v10, v10, v55, vcc
	v_add_u32_e32 v3, 0xffffff81, v2
	v_cndmask_b32_e32 v40, v16, v40, vcc
	v_add_u32_e32 v2, 21, v10
	v_cndmask_b32_e32 v22, v3, v54, vcc
	v_lshlrev_b64 v[2:3], v2, -1
	v_lshrrev_b64 v[32:33], v10, v[40:41]
	v_not_b32_e32 v3, v3
	v_not_b32_e32 v2, v2
	v_add_u32_e32 v16, 20, v10
	v_lshrrev_b32_e32 v23, 23, v32
	v_and_b32_e32 v3, 0, v3
	v_and_b32_e32 v2, v40, v2
	v_lshlrev_b64 v[16:17], v16, 1
	v_add3_u32 v23, v10, v22, v23
	v_bfe_u32 v10, v32, 21, 1
	v_add_u32_e32 v10, -1, v10
	v_cmp_eq_u64_e32 vcc, v[2:3], v[16:17]
	v_cndmask_b32_e32 v2, 0, v10, vcc
	v_add_u32_e32 v2, v2, v32
	v_and_b32_e32 v2, 0x1fffff, v2
	v_add_co_u32_e32 v2, vcc, v2, v32
	v_add_u32_e32 v22, 14, v23
	v_addc_co_u32_e32 v3, vcc, 0, v33, vcc
	v_cmp_ne_u32_e32 vcc, 0, v22
                                        ; implicit-def: $vgpr10
	s_and_saveexec_b64 s[16:17], vcc
	s_xor_b64 s[16:17], exec, s[16:17]
; %bb.613:                              ;   in Loop: Header=BB0_381 Depth=2
	v_cmp_lt_u64_e32 vcc, s[42:43], v[2:3]
	v_add_u32_e32 v10, 15, v23
	v_cndmask_b32_e64 v16, 0, 1, vcc
	v_cndmask_b32_e32 v10, v22, v10, vcc
	v_lshrrev_b64 v[2:3], v16, v[2:3]
; %bb.614:                              ;   in Loop: Header=BB0_381 Depth=2
	s_andn2_saveexec_b64 s[16:17], s[16:17]
; %bb.615:                              ;   in Loop: Header=BB0_381 Depth=2
	v_bfe_u32 v10, v2, 23, 1
; %bb.616:                              ;   in Loop: Header=BB0_381 Depth=2
	s_or_b64 exec, exec, s[16:17]
	v_lshrrev_b64 v[2:3], 21, v[2:3]
	v_cmp_gt_i32_e32 vcc, 32, v10
	v_cndmask_b32_e32 v3, 0, v3, vcc
	v_cndmask_b32_e32 v2, 3, v2, vcc
	v_cmp_eq_u64_e64 s[16:17], 0, v[2:3]
	v_min_i32_e32 v3, 31, v10
	v_lshlrev_b32_e32 v3, 2, v3
	v_cmp_eq_u32_e32 vcc, 0, v10
	v_and_b32_e32 v3, 0xfc, v3
	v_and_or_b32 v2, v2, 3, v3
	s_and_b64 s[16:17], vcc, s[16:17]
	v_cndmask_b32_e64 v2, v2, 0, s[16:17]
	v_or_b32_e32 v2, v2, v4
.LBB0_617:                              ;   in Loop: Header=BB0_381 Depth=2
	s_or_b64 exec, exec, s[50:51]
.LBB0_618:                              ;   in Loop: Header=BB0_381 Depth=2
	s_or_b64 exec, exec, s[48:49]
                                        ; implicit-def: $vgpr3
.LBB0_619:                              ;   in Loop: Header=BB0_381 Depth=2
	s_andn2_saveexec_b64 s[16:17], s[46:47]
; %bb.620:                              ;   in Loop: Header=BB0_381 Depth=2
	v_or_b32_sdwa v3, v3, s68 dst_sel:DWORD dst_unused:UNUSED_PAD src0_sel:BYTE_3 src1_sel:DWORD
	v_cmp_eq_u64_e32 vcc, 0, v[40:41]
	v_cndmask_b32_e32 v2, v3, v2, vcc
; %bb.621:                              ;   in Loop: Header=BB0_381 Depth=2
	s_or_b64 exec, exec, s[16:17]
	v_lshlrev_b32_e32 v3, 8, v27
	v_lshlrev_b32_e32 v2, 24, v2
	v_lshlrev_b32_e32 v4, 16, v28
	v_perm_b32 v3, v3, v5, s71
	v_cmp_lt_u32_e32 vcc, 7, v60
	v_or3_b32 v3, v2, v3, v4
	v_cndmask_b32_e64 v2, 0, 1, vcc
	;;#ASMSTART
	;;#ASMEND
	v_cmp_ne_u32_e64 s[16:17], 0, v2
	s_cmp_lg_u64 s[16:17], exec
	s_mov_b64 s[16:17], -1
	s_cbranch_scc0 .LBB0_631
; %bb.622:                              ;   in Loop: Header=BB0_381 Depth=2
	v_cmp_ne_u32_e64 s[16:17], 1, v60
	flat_store_byte v[0:1], v8
	s_and_saveexec_b64 s[46:47], s[16:17]
	s_cbranch_execnz .LBB0_633
; %bb.623:                              ;   in Loop: Header=BB0_381 Depth=2
	s_or_b64 exec, exec, s[46:47]
	v_cmp_lt_u32_e64 s[16:17], 2, v60
	s_and_saveexec_b64 s[46:47], s[16:17]
	s_cbranch_execnz .LBB0_634
.LBB0_624:                              ;   in Loop: Header=BB0_381 Depth=2
	s_or_b64 exec, exec, s[46:47]
	v_cmp_lt_u32_e64 s[16:17], 3, v60
	s_and_saveexec_b64 s[46:47], s[16:17]
	s_cbranch_execnz .LBB0_635
.LBB0_625:                              ;   in Loop: Header=BB0_381 Depth=2
	s_or_b64 exec, exec, s[46:47]
	v_cmp_lt_u32_e64 s[16:17], 4, v60
	s_and_saveexec_b64 s[46:47], s[16:17]
	s_cbranch_execnz .LBB0_636
.LBB0_626:                              ;   in Loop: Header=BB0_381 Depth=2
	s_or_b64 exec, exec, s[46:47]
	v_cmp_lt_u32_e64 s[16:17], 5, v60
	s_and_saveexec_b64 s[46:47], s[16:17]
	s_cbranch_execnz .LBB0_637
.LBB0_627:                              ;   in Loop: Header=BB0_381 Depth=2
	s_or_b64 exec, exec, s[46:47]
	v_cmp_lt_u32_e64 s[16:17], 6, v60
	s_and_saveexec_b64 s[46:47], s[16:17]
	s_cbranch_execnz .LBB0_638
.LBB0_628:                              ;   in Loop: Header=BB0_381 Depth=2
	s_or_b64 exec, exec, s[46:47]
	s_and_saveexec_b64 s[16:17], vcc
	s_cbranch_execz .LBB0_630
.LBB0_629:                              ;   in Loop: Header=BB0_381 Depth=2
	v_lshrrev_b32_e32 v2, 24, v3
	flat_store_byte v[0:1], v2 offset:7
.LBB0_630:                              ;   in Loop: Header=BB0_381 Depth=2
	s_or_b64 exec, exec, s[16:17]
	s_mov_b64 s[16:17], 0
.LBB0_631:                              ;   in Loop: Header=BB0_381 Depth=2
	s_and_b64 vcc, exec, s[16:17]
	s_cbranch_vccz .LBB0_380
; %bb.632:                              ;   in Loop: Header=BB0_381 Depth=2
	v_perm_b32 v4, v11, v21, s72
	v_lshlrev_b32_e32 v2, 8, v9
	v_perm_b32 v4, v4, v8, s73
	v_and_or_b32 v2, v2, s74, v4
	global_store_dwordx2 v[0:1], v[2:3], off
	s_branch .LBB0_380
.LBB0_633:                              ;   in Loop: Header=BB0_381 Depth=2
	flat_store_byte v[0:1], v9 offset:1
	s_or_b64 exec, exec, s[46:47]
	v_cmp_lt_u32_e64 s[16:17], 2, v60
	s_and_saveexec_b64 s[46:47], s[16:17]
	s_cbranch_execz .LBB0_624
.LBB0_634:                              ;   in Loop: Header=BB0_381 Depth=2
	flat_store_byte v[0:1], v21 offset:2
	s_or_b64 exec, exec, s[46:47]
	v_cmp_lt_u32_e64 s[16:17], 3, v60
	s_and_saveexec_b64 s[46:47], s[16:17]
	s_cbranch_execz .LBB0_625
.LBB0_635:                              ;   in Loop: Header=BB0_381 Depth=2
	flat_store_byte v[0:1], v11 offset:3
	s_or_b64 exec, exec, s[46:47]
	v_cmp_lt_u32_e64 s[16:17], 4, v60
	s_and_saveexec_b64 s[46:47], s[16:17]
	s_cbranch_execz .LBB0_626
.LBB0_636:                              ;   in Loop: Header=BB0_381 Depth=2
	flat_store_byte v[0:1], v5 offset:4
	s_or_b64 exec, exec, s[46:47]
	v_cmp_lt_u32_e64 s[16:17], 5, v60
	s_and_saveexec_b64 s[46:47], s[16:17]
	s_cbranch_execz .LBB0_627
.LBB0_637:                              ;   in Loop: Header=BB0_381 Depth=2
	flat_store_byte v[0:1], v27 offset:5
	s_or_b64 exec, exec, s[46:47]
	v_cmp_lt_u32_e64 s[16:17], 6, v60
	s_and_saveexec_b64 s[46:47], s[16:17]
	s_cbranch_execz .LBB0_628
.LBB0_638:                              ;   in Loop: Header=BB0_381 Depth=2
	flat_store_byte v[0:1], v28 offset:6
	s_or_b64 exec, exec, s[46:47]
	s_and_saveexec_b64 s[16:17], vcc
	s_cbranch_execnz .LBB0_629
	s_branch .LBB0_630
.LBB0_639:                              ;   in Loop: Header=BB0_21 Depth=1
	s_or_b64 exec, exec, s[44:45]
	v_accvgpr_read_b32 v51, a5
	v_accvgpr_read_b32 v33, a11
	;; [unrolled: 1-line block ×12, first 2 shown]
	s_or_b64 exec, exec, s[18:19]
	s_and_saveexec_b64 s[16:17], s[10:11]
	s_cbranch_execz .LBB0_378
.LBB0_640:                              ;   in Loop: Header=BB0_21 Depth=1
	s_and_saveexec_b64 s[18:19], s[28:29]
	s_xor_b64 s[18:19], exec, s[18:19]
	s_cbranch_execz .LBB0_655
; %bb.641:                              ;   in Loop: Header=BB0_21 Depth=1
	s_and_saveexec_b64 s[44:45], s[12:13]
	s_cbranch_execz .LBB0_654
; %bb.642:                              ;   in Loop: Header=BB0_21 Depth=1
	s_mov_b64 s[48:49], exec
	v_mbcnt_lo_u32_b32 v0, s48, 0
	v_mbcnt_hi_u32_b32 v0, s49, v0
	v_cmp_eq_u32_e32 vcc, 0, v0
	s_waitcnt vmcnt(0) lgkmcnt(0)
	buffer_wbinvl1_vol
	s_and_saveexec_b64 s[46:47], vcc
	s_cbranch_execz .LBB0_644
; %bb.643:                              ;   in Loop: Header=BB0_21 Depth=1
	s_bcnt1_i32_b64 vcc_lo, s[48:49]
	v_mov_b32_e32 v40, vcc_lo
	ds_add_u64 v0, v[40:41]
	s_trap 2
.LBB0_644:                              ;   in Loop: Header=BB0_21 Depth=1
	s_or_b64 exec, exec, s[46:47]
	s_trap 2
	ds_read_b64 v[0:1], v0
	v_accvgpr_read_b32 v2, a30
	v_add_co_u32_e32 v42, vcc, v42, v2
	v_accvgpr_read_b32 v3, a41
	v_addc_co_u32_e32 v43, vcc, v43, v3, vcc
	s_waitcnt lgkmcnt(0)
	v_cmp_lt_u64_e32 vcc, v[0:1], v[42:43]
	s_and_saveexec_b64 s[46:47], vcc
	s_cbranch_execz .LBB0_653
; %bb.645:                              ;   in Loop: Header=BB0_21 Depth=1
	s_mov_b32 s58, 0
	s_mov_b64 s[48:49], 0
                                        ; implicit-def: $sgpr50_sgpr51
                                        ; implicit-def: $sgpr52_sgpr53
	s_branch .LBB0_647
.LBB0_646:                              ;   in Loop: Header=BB0_647 Depth=2
	s_or_b64 exec, exec, s[56:57]
	s_and_b64 vcc, exec, vcc
	s_or_b64 s[48:49], vcc, s[48:49]
	s_andn2_b64 vcc, s[50:51], exec
	s_and_b64 s[50:51], s[52:53], exec
	s_or_b64 s[50:51], vcc, s[50:51]
	s_andn2_b64 exec, exec, s[48:49]
	s_cbranch_execz .LBB0_651
.LBB0_647:                              ;   Parent Loop BB0_21 Depth=1
                                        ; =>  This Inner Loop Header: Depth=2
	s_add_i32 s58, s58, 1
	s_cmpk_lg_i32 s58, 0x2710
	s_cselect_b64 s[54:55], -1, 0
	s_and_b64 vcc, exec, s[54:55]
                                        ; implicit-def: $sgpr56_sgpr57
	s_cbranch_vccnz .LBB0_649
; %bb.648:                              ;   in Loop: Header=BB0_647 Depth=2
	s_trap 2
	ds_read_b64 v[0:1], v0
	s_andn2_b64 s[54:55], s[54:55], exec
	s_mov_b32 s58, 0
	s_mov_b64 s[56:57], -1
	s_waitcnt lgkmcnt(0)
	flat_load_dword v0, v[0:1] glc
	s_waitcnt vmcnt(0) lgkmcnt(0)
	buffer_invl2
	buffer_wbinvl1_vol
	v_cmp_eq_u32_e32 vcc, 0, v0
	s_and_b64 vcc, vcc, exec
	s_or_b64 s[54:55], s[54:55], vcc
.LBB0_649:                              ;   in Loop: Header=BB0_647 Depth=2
	s_andn2_b64 s[52:53], s[52:53], exec
	s_and_b64 s[56:57], s[56:57], exec
	s_mov_b64 vcc, -1
	s_or_b64 s[52:53], s[52:53], s[56:57]
	s_and_saveexec_b64 s[56:57], s[54:55]
	s_cbranch_execz .LBB0_646
; %bb.650:                              ;   in Loop: Header=BB0_647 Depth=2
	s_sleep 1
	s_trap 2
	ds_read_b64 v[0:1], v0
	s_andn2_b64 s[52:53], s[52:53], exec
	s_waitcnt lgkmcnt(0)
	v_cmp_ge_u64_e32 vcc, v[0:1], v[42:43]
	s_orn2_b64 vcc, vcc, exec
	s_branch .LBB0_646
.LBB0_651:                              ;   in Loop: Header=BB0_21 Depth=1
	s_or_b64 exec, exec, s[48:49]
	s_and_saveexec_b64 vcc, s[50:51]
	s_xor_b64 vcc, exec, vcc
	s_cbranch_execz .LBB0_653
; %bb.652:                              ;   in Loop: Header=BB0_21 Depth=1
	v_mov_b32_e32 v0, 1
	ds_write_b32 v0, v0
	s_trap 2
.LBB0_653:                              ;   in Loop: Header=BB0_21 Depth=1
	s_or_b64 exec, exec, s[46:47]
	;;#ASMSTART
	s_wakeup
	;;#ASMEND
.LBB0_654:                              ;   in Loop: Header=BB0_21 Depth=1
	s_or_b64 exec, exec, s[44:45]
.LBB0_655:                              ;   in Loop: Header=BB0_21 Depth=1
	s_andn2_saveexec_b64 s[18:19], s[18:19]
	s_cbranch_execz .LBB0_657
; %bb.656:                              ;   in Loop: Header=BB0_21 Depth=1
	s_waitcnt vmcnt(0) lgkmcnt(0)
	buffer_wbinvl1_vol
	s_barrier
.LBB0_657:                              ;   in Loop: Header=BB0_21 Depth=1
	s_or_b64 exec, exec, s[18:19]
	s_or_b64 exec, exec, s[16:17]
	s_and_saveexec_b64 s[16:17], s[14:15]
	s_cbranch_execz .LBB0_20
.LBB0_658:                              ;   in Loop: Header=BB0_21 Depth=1
	v_add_co_u32_e32 v38, vcc, 1, v38
	v_accvgpr_read_b32 v0, a22
	v_addc_co_u32_e32 v39, vcc, 0, v39, vcc
	v_accvgpr_read_b32 v1, a23
	flat_store_dwordx2 v[0:1], v[38:39]
	s_branch .LBB0_20
.LBB0_659:
	s_or_b64 exec, exec, s[26:27]
	v_accvgpr_read_b32 v23, a15
	v_accvgpr_read_b32 v25, a17
	v_accvgpr_read_b32 v31, a0
	v_accvgpr_read_b32 v16, a1
	v_accvgpr_read_b32 v22, a14
	v_accvgpr_read_b32 v24, a16
.LBB0_660:
	s_or_b64 exec, exec, s[24:25]
; %bb.661:
	s_and_saveexec_b64 s[6:7], s[22:23]
	s_cbranch_execnz .LBB0_664
; %bb.662:
	s_or_b64 exec, exec, s[6:7]
	s_and_saveexec_b64 s[6:7], s[4:5]
	s_cbranch_execnz .LBB0_665
.LBB0_663:
	s_or_b64 exec, exec, s[6:7]
	v_cmp_ne_u32_e32 vcc, 64, v20
	s_and_saveexec_b64 s[4:5], vcc
	s_cbranch_execnz .LBB0_666
	s_branch .LBB0_683
.LBB0_664:
	s_waitcnt vmcnt(0) lgkmcnt(0)
	flat_store_dwordx2 v[24:25], v[38:39] offset:104
	s_or_b64 exec, exec, s[6:7]
	s_and_saveexec_b64 s[6:7], s[4:5]
	s_cbranch_execz .LBB0_663
.LBB0_665:
	s_waitcnt vmcnt(0) lgkmcnt(0)
	flat_store_dwordx2 v[22:23], v[14:15] offset:104
	s_or_b64 exec, exec, s[6:7]
	v_cmp_ne_u32_e32 vcc, 64, v20
	s_and_saveexec_b64 s[4:5], vcc
	s_cbranch_execz .LBB0_683
.LBB0_666:
	v_cmp_ne_u32_sdwa s[6:7], v16, v20 src0_sel:WORD_0 src1_sel:DWORD
	s_and_saveexec_b64 s[8:9], s[6:7]
	s_xor_b64 s[6:7], exec, s[8:9]
	s_cbranch_execz .LBB0_681
; %bb.667:
	v_and_b32_e32 v0, 63, v31
	v_cmp_eq_u32_e32 vcc, 0, v0
	s_and_saveexec_b64 s[8:9], vcc
	s_cbranch_execz .LBB0_680
; %bb.668:
	s_mov_b64 s[12:13], exec
	v_mbcnt_lo_u32_b32 v0, s12, 0
	v_mbcnt_hi_u32_b32 v0, s13, v0
	v_cmp_eq_u32_e32 vcc, 0, v0
	s_waitcnt vmcnt(0) lgkmcnt(0)
	buffer_wbinvl1_vol
	s_and_saveexec_b64 s[10:11], vcc
	s_cbranch_execz .LBB0_670
; %bb.669:
	s_bcnt1_i32_b64 s12, s[12:13]
	v_mov_b32_e32 v0, s12
	v_mov_b32_e32 v1, 0
	ds_add_u64 v0, v[0:1]
	s_trap 2
.LBB0_670:
	s_or_b64 exec, exec, s[10:11]
	v_ashrrev_i32_e32 v0, 31, v20
	v_lshrrev_b32_e32 v0, 26, v0
	v_add_u32_e32 v0, v20, v0
	v_ashrrev_i32_e32 v0, 6, v0
	s_trap 2
	ds_read_b64 v[2:3], v0
	v_ashrrev_i32_e32 v1, 31, v0
	v_add_co_u32_e32 v0, vcc, v42, v0
	v_addc_co_u32_e32 v1, vcc, v43, v1, vcc
	s_waitcnt lgkmcnt(0)
	v_cmp_lt_u64_e32 vcc, v[2:3], v[0:1]
	s_and_saveexec_b64 s[10:11], vcc
	s_cbranch_execz .LBB0_679
; %bb.671:
	s_mov_b32 s24, 0
	s_mov_b64 s[12:13], 0
                                        ; implicit-def: $sgpr14_sgpr15
                                        ; implicit-def: $sgpr16_sgpr17
	s_branch .LBB0_673
.LBB0_672:                              ;   in Loop: Header=BB0_673 Depth=1
	s_or_b64 exec, exec, s[22:23]
	s_and_b64 s[18:19], exec, s[20:21]
	s_or_b64 s[12:13], s[18:19], s[12:13]
	s_andn2_b64 s[14:15], s[14:15], exec
	s_and_b64 s[18:19], s[16:17], exec
	s_or_b64 s[14:15], s[14:15], s[18:19]
	s_andn2_b64 exec, exec, s[12:13]
	s_cbranch_execz .LBB0_677
.LBB0_673:                              ; =>This Inner Loop Header: Depth=1
	s_add_i32 s24, s24, 1
	s_cmpk_lg_i32 s24, 0x2710
	s_cselect_b64 s[18:19], -1, 0
	s_and_b64 vcc, exec, s[18:19]
                                        ; implicit-def: $sgpr22_sgpr23
	s_cbranch_vccnz .LBB0_675
; %bb.674:                              ;   in Loop: Header=BB0_673 Depth=1
	s_trap 2
	ds_read_b64 v[2:3], v0
	s_andn2_b64 s[18:19], s[18:19], exec
	s_mov_b32 s24, 0
	s_mov_b64 s[22:23], -1
	s_waitcnt lgkmcnt(0)
	flat_load_dword v2, v[2:3] glc
	s_waitcnt vmcnt(0) lgkmcnt(0)
	buffer_invl2
	buffer_wbinvl1_vol
	v_cmp_eq_u32_e32 vcc, 0, v2
	s_and_b64 s[20:21], vcc, exec
	s_or_b64 s[18:19], s[18:19], s[20:21]
.LBB0_675:                              ;   in Loop: Header=BB0_673 Depth=1
	s_andn2_b64 s[16:17], s[16:17], exec
	s_and_b64 s[22:23], s[22:23], exec
	s_mov_b64 s[20:21], -1
	s_or_b64 s[16:17], s[16:17], s[22:23]
	s_and_saveexec_b64 s[22:23], s[18:19]
	s_cbranch_execz .LBB0_672
; %bb.676:                              ;   in Loop: Header=BB0_673 Depth=1
	s_sleep 1
	s_trap 2
	ds_read_b64 v[2:3], v0
	s_andn2_b64 s[16:17], s[16:17], exec
	s_waitcnt lgkmcnt(0)
	v_cmp_ge_u64_e32 vcc, v[2:3], v[0:1]
	s_orn2_b64 s[20:21], vcc, exec
	s_branch .LBB0_672
.LBB0_677:
	s_or_b64 exec, exec, s[12:13]
	s_and_saveexec_b64 s[12:13], s[14:15]
	s_xor_b64 s[12:13], exec, s[12:13]
	s_cbranch_execz .LBB0_679
; %bb.678:
	v_mov_b32_e32 v0, 1
	ds_write_b32 v0, v0
	s_trap 2
.LBB0_679:
	s_or_b64 exec, exec, s[10:11]
	;;#ASMSTART
	s_wakeup
	;;#ASMEND
.LBB0_680:
	s_or_b64 exec, exec, s[8:9]
.LBB0_681:
	s_andn2_saveexec_b64 s[6:7], s[6:7]
	s_cbranch_execz .LBB0_683
; %bb.682:
	s_waitcnt vmcnt(0) lgkmcnt(0)
	buffer_wbinvl1_vol
	s_barrier
.LBB0_683:
	s_or_b64 exec, exec, s[4:5]
	buffer_load_dword a49, off, s[0:3], s32 ; 4-byte Folded Reload
	buffer_load_dword a48, off, s[0:3], s32 offset:4 ; 4-byte Folded Reload
	buffer_load_dword a46, off, s[0:3], s32 offset:8 ; 4-byte Folded Reload
	;; [unrolled: 1-line block ×31, first 2 shown]
	v_readlane_b32 s30, v63, 43
	v_readlane_b32 s31, v63, 44
	;; [unrolled: 1-line block ×45, first 2 shown]
	s_or_saveexec_b64 s[4:5], -1
	buffer_load_dword v63, off, s[0:3], s32 offset:128 ; 4-byte Folded Reload
	s_mov_b64 exec, s[4:5]
	s_waitcnt vmcnt(0) lgkmcnt(0)
	s_setpc_b64 s[30:31]
.Lfunc_end0:
	.size	_ZN12_GLOBAL__N_17runRingI14__hip_fp8_e5m28FuncProdIS1_E7ProtoLLLi0ELi1ELi0EEEviiP15ncclDevWorkColl, .Lfunc_end0-_ZN12_GLOBAL__N_17runRingI14__hip_fp8_e5m28FuncProdIS1_E7ProtoLLLi0ELi1ELi0EEEviiP15ncclDevWorkColl
                                        ; -- End function
	.section	.AMDGPU.csdata,"",@progbits
; Function info:
; codeLenInByte = 21912
; NumSgprs: 81
; NumVgprs: 64
; NumAgprs: 50
; TotalNumVgprs: 114
; ScratchSize: 136
; MemoryBound: 0
	.text
	.p2align	2                               ; -- Begin function _Z51ncclDevFunc_ReduceScatter_RING_LL_Prod_f8e5m2_0_0_1v
	.type	_Z51ncclDevFunc_ReduceScatter_RING_LL_Prod_f8e5m2_0_0_1v,@function
_Z51ncclDevFunc_ReduceScatter_RING_LL_Prod_f8e5m2_0_0_1v: ; @_Z51ncclDevFunc_ReduceScatter_RING_LL_Prod_f8e5m2_0_0_1v
; %bb.0:
	s_waitcnt vmcnt(0) expcnt(0) lgkmcnt(0)
	s_mov_b32 s4, s33
	s_mov_b32 s33, s32
	s_or_saveexec_b64 s[6:7], -1
	buffer_store_dword v43, off, s[0:3], s33 offset:16 ; 4-byte Folded Spill
	s_mov_b64 exec, s[6:7]
	v_writelane_b32 v43, s4, 53
	s_addk_i32 s32, 0x800
	buffer_store_dword v40, off, s[0:3], s33 offset:12 ; 4-byte Folded Spill
	buffer_store_dword v41, off, s[0:3], s33 offset:8 ; 4-byte Folded Spill
	;; [unrolled: 1-line block ×3, first 2 shown]
	buffer_store_dword v63, off, s[0:3], s33 ; 4-byte Folded Spill
	v_writelane_b32 v43, s34, 0
	v_writelane_b32 v43, s35, 1
	;; [unrolled: 1-line block ×53, first 2 shown]
	s_trap 2
	ds_read_b32 v0, v0
	v_mov_b32_e32 v40, v31
	s_mov_b32 s77, s12
	s_mov_b64 s[78:79], s[8:9]
	s_waitcnt lgkmcnt(0)
	v_cmp_gt_i32_e32 vcc, 1, v0
	s_cbranch_vccnz .LBB1_8
; %bb.1:
	s_mov_b32 s84, 0
	v_and_b32_e32 v41, 0x3ff, v40
	s_mov_b64 s[80:81], src_shared_base
	v_mov_b32_e32 v42, 6
	s_branch .LBB1_3
.LBB1_2:                                ;   in Loop: Header=BB1_3 Depth=1
	s_or_b64 exec, exec, s[82:83]
	s_trap 2
	ds_read_b32 v0, v0
	s_add_i32 s84, s84, 1
	s_waitcnt lgkmcnt(0)
	v_cmp_lt_i32_e32 vcc, s84, v0
	s_cbranch_vccz .LBB1_8
.LBB1_3:                                ; =>This Inner Loop Header: Depth=1
	s_trap 2
	ds_read_b32 v0, v0
	s_cmp_eq_u32 s84, 0
	s_cbranch_scc1 .LBB1_6
; %bb.4:                                ;   in Loop: Header=BB1_3 Depth=1
	s_trap 2
	s_waitcnt lgkmcnt(0)
	ds_read_b32 v1, v0
	s_waitcnt lgkmcnt(0)
	v_xor_b32_e32 v1, v1, v0
	v_and_b32_e32 v1, 0xff0000, v1
	v_cmp_eq_u32_e32 vcc, 0, v1
	s_cbranch_vccnz .LBB1_6
; %bb.5:                                ;   in Loop: Header=BB1_3 Depth=1
	s_barrier
	ds_read_b32 v0, v0
.LBB1_6:                                ;   in Loop: Header=BB1_3 Depth=1
	s_waitcnt lgkmcnt(0)
	v_lshlrev_b32_sdwa v1, v42, v0 dst_sel:DWORD dst_unused:UNUSED_PAD src0_sel:DWORD src1_sel:BYTE_2
	v_cmp_lt_u32_e32 vcc, v41, v1
	s_and_saveexec_b64 s[82:83], vcc
	s_cbranch_execz .LBB1_2
; %bb.7:                                ;   in Loop: Header=BB1_3 Depth=1
	s_mov_b64 s[8:9], s[78:79]
	s_mov_b32 s12, s77
	v_mov_b32_e32 v31, v40
	v_mov_b32_e32 v0, v41
	;; [unrolled: 1-line block ×3, first 2 shown]
	s_getpc_b64 s[4:5]
	s_add_u32 s4, s4, _ZN12_GLOBAL__N_17runRingI14__hip_fp8_e5m28FuncProdIS1_E7ProtoLLLi0ELi1ELi0EEEviiP15ncclDevWorkColl@rel32@lo+4
	s_addc_u32 s5, s5, _ZN12_GLOBAL__N_17runRingI14__hip_fp8_e5m28FuncProdIS1_E7ProtoLLLi0ELi1ELi0EEEviiP15ncclDevWorkColl@rel32@hi+12
	s_swappc_b64 s[30:31], s[4:5]
	s_branch .LBB1_2
.LBB1_8:
	buffer_load_dword v63, off, s[0:3], s33 ; 4-byte Folded Reload
	buffer_load_dword v42, off, s[0:3], s33 offset:4 ; 4-byte Folded Reload
	buffer_load_dword v41, off, s[0:3], s33 offset:8 ; 4-byte Folded Reload
	buffer_load_dword v40, off, s[0:3], s33 offset:12 ; 4-byte Folded Reload
	v_readlane_b32 s30, v43, 51
	v_readlane_b32 s31, v43, 52
	;; [unrolled: 1-line block ×54, first 2 shown]
	s_or_saveexec_b64 s[6:7], -1
	buffer_load_dword v43, off, s[0:3], s33 offset:16 ; 4-byte Folded Reload
	s_mov_b64 exec, s[6:7]
	s_addk_i32 s32, 0xf800
	s_mov_b32 s33, s4
	s_waitcnt vmcnt(0)
	s_setpc_b64 s[30:31]
.Lfunc_end1:
	.size	_Z51ncclDevFunc_ReduceScatter_RING_LL_Prod_f8e5m2_0_0_1v, .Lfunc_end1-_Z51ncclDevFunc_ReduceScatter_RING_LL_Prod_f8e5m2_0_0_1v
                                        ; -- End function
	.section	.AMDGPU.csdata,"",@progbits
; Function info:
; codeLenInByte = 1228
; NumSgprs: 89
; NumVgprs: 64
; NumAgprs: 50
; TotalNumVgprs: 114
; ScratchSize: 168
; MemoryBound: 0
	.text
	.p2align	2                               ; -- Begin function _ZN12_GLOBAL__N_17runRingI14__hip_fp8_e5m28FuncProdIS1_E7ProtoLLLi0ELi2ELi0EEEviiP15ncclDevWorkColl
	.type	_ZN12_GLOBAL__N_17runRingI14__hip_fp8_e5m28FuncProdIS1_E7ProtoLLLi0ELi2ELi0EEEviiP15ncclDevWorkColl,@function
_ZN12_GLOBAL__N_17runRingI14__hip_fp8_e5m28FuncProdIS1_E7ProtoLLLi0ELi2ELi0EEEviiP15ncclDevWorkColl: ; @_ZN12_GLOBAL__N_17runRingI14__hip_fp8_e5m28FuncProdIS1_E7ProtoLLLi0ELi2ELi0EEEviiP15ncclDevWorkColl
; %bb.0:
	s_waitcnt vmcnt(0) expcnt(0) lgkmcnt(0)
	s_or_saveexec_b64 s[4:5], -1
	buffer_store_dword v63, off, s[0:3], s32 offset:128 ; 4-byte Folded Spill
	s_mov_b64 exec, s[4:5]
	buffer_store_dword v40, off, s[0:3], s32 offset:124 ; 4-byte Folded Spill
	buffer_store_dword v41, off, s[0:3], s32 offset:120 ; 4-byte Folded Spill
	;; [unrolled: 1-line block ×31, first 2 shown]
	buffer_store_dword a49, off, s[0:3], s32 ; 4-byte Folded Spill
	v_writelane_b32 v63, s34, 0
	v_writelane_b32 v63, s35, 1
	;; [unrolled: 1-line block ×45, first 2 shown]
	s_trap 2
	flat_load_dword v7, v[2:3]
	flat_load_dwordx4 v[48:51], v[2:3] offset:72
	flat_load_dwordx2 v[10:11], v[2:3] offset:88
	ds_read_b32 v5, v0
	ds_read_b64 a[6:7], v0
	v_mov_b32_e32 v20, v1
                                        ; implicit-def: $vgpr26_vgpr27
                                        ; implicit-def: $agpr8_agpr9
	s_waitcnt lgkmcnt(0)
	v_readfirstlane_b32 s20, v5
	s_waitcnt vmcnt(0)
	v_not_b32_sdwa v6, v7 dst_sel:DWORD dst_unused:UNUSED_PAD src0_sel:BYTE_0
	v_add_u32_sdwa v4, v7, v6 dst_sel:DWORD dst_unused:UNUSED_PAD src0_sel:BYTE_1 src1_sel:DWORD
	v_ashrrev_i32_e32 v8, 31, v4
	v_mul_lo_u32 v9, v51, v4
	v_mad_u64_u32 v[18:19], s[4:5], v50, v4, 0
	v_mul_lo_u32 v4, v50, v8
	v_add3_u32 v4, v19, v4, v9
	v_cmp_ne_u32_sdwa s[4:5], v7, v5 src0_sel:BYTE_0 src1_sel:DWORD
	s_and_saveexec_b64 s[6:7], s[4:5]
	s_xor_b64 s[4:5], exec, s[6:7]
	s_cbranch_execz .LBB2_6
; %bb.1:
	v_cmp_ne_u32_sdwa s[6:7], v7, v5 src0_sel:BYTE_1 src1_sel:DWORD
                                        ; implicit-def: $vgpr26_vgpr27
                                        ; implicit-def: $agpr8_agpr9
	s_and_saveexec_b64 s[10:11], s[6:7]
	s_xor_b64 s[6:7], exec, s[10:11]
	s_cbranch_execz .LBB2_3
; %bb.2:
	flat_load_dwordx2 v[8:9], v[2:3] offset:96
	v_add_u32_e32 v5, v5, v6
	v_ashrrev_i32_e32 v6, 31, v5
	v_mul_lo_u32 v6, v50, v6
	v_mul_lo_u32 v7, v51, v5
	v_mad_u64_u32 v[12:13], s[10:11], v50, v5, v[48:49]
	v_add3_u32 v13, v7, v13, v6
	v_accvgpr_write_b32 a8, v12
	v_accvgpr_write_b32 a9, v13
	s_waitcnt vmcnt(0) lgkmcnt(0)
	v_lshrrev_b64 v[26:27], 17, v[8:9]
.LBB2_3:
	s_andn2_saveexec_b64 s[6:7], s[6:7]
	s_cbranch_execz .LBB2_5
; %bb.4:
	flat_load_dword v5, v[2:3] offset:100
	v_add_co_u32_e32 v6, vcc, v18, v48
	v_addc_co_u32_e32 v7, vcc, v4, v49, vcc
	v_accvgpr_write_b32 a9, v7
	v_accvgpr_write_b32 a8, v6
	v_pk_mov_b32 v[50:51], v[10:11], v[10:11] op_sel:[0,1]
	s_waitcnt vmcnt(0) lgkmcnt(0)
	v_lshrrev_b32_e32 v26, 6, v5
.LBB2_5:
	s_or_b64 exec, exec, s[6:7]
.LBB2_6:
	s_andn2_saveexec_b64 s[4:5], s[4:5]
	s_cbranch_execz .LBB2_8
; %bb.7:
	flat_load_dwordx2 v[6:7], v[2:3] offset:96
	v_pk_mov_b32 v[8:9], 0, 0
	v_accvgpr_write_b32 a8, v8
	v_accvgpr_write_b32 a9, v9
	v_pk_mov_b32 v[50:51], v[48:49], v[48:49] op_sel:[0,1]
	s_waitcnt vmcnt(0) lgkmcnt(0)
	v_lshlrev_b64 v[26:27], 4, v[6:7]
.LBB2_8:
	s_or_b64 exec, exec, s[4:5]
	flat_load_ushort v7, v[2:3] offset:8
	flat_load_dword v6, v[2:3] offset:4
	s_load_dword s4, s[8:9], 0x0
	flat_load_dwordx4 a[10:13], v[2:3] offset:16
	v_mov_b32_e32 v3, 0
	v_ashrrev_i32_e32 v1, 31, v0
	v_lshrrev_b32_e32 v2, 26, v1
	s_waitcnt lgkmcnt(0)
	s_cmp_lt_u32 s12, s4
	s_cselect_b32 s4, 12, 18
	s_add_u32 s4, s8, s4
	s_addc_u32 s5, s9, 0
	global_load_ushort v16, v3, s[4:5]
	v_add_u32_e32 v5, v0, v2
	s_trap 2
	ds_read_b32 v2, v0
	v_and_b32_e32 v5, 0xffffffc0, v5
	v_accvgpr_write_b32 a3, v1
	v_sub_u32_e32 v5, v0, v5
	v_accvgpr_write_b32 a2, v0
	s_waitcnt lgkmcnt(0)
	v_cmp_gt_i32_e32 vcc, 0, v2
	s_mov_b32 s6, 0
	v_readfirstlane_b32 s8, v2
	s_and_b64 vcc, exec, vcc
	v_pk_mov_b32 v[22:23], 0, 0
	v_cmp_eq_u32_e64 s[4:5], 0, v5
	s_waitcnt vmcnt(0)
	v_lshrrev_b64 v[6:7], 31, v[6:7]
	v_and_b32_e32 v6, 3, v6
	s_cbranch_vccnz .LBB2_10
; %bb.9:
	s_trap 2
	ds_read_b64 v[8:9], v0
	v_lshlrev_b64 v[2:3], 3, v[2:3]
	v_and_b32_e32 v7, 0xffff, v6
	s_movk_i32 s6, 0xa8
	s_waitcnt lgkmcnt(0)
	v_add_co_u32_e32 v2, vcc, v8, v2
	v_addc_co_u32_e32 v3, vcc, v9, v3, vcc
	flat_load_dwordx2 v[2:3], v[2:3]
	s_waitcnt vmcnt(0) lgkmcnt(0)
	v_mad_u64_u32 v[2:3], s[6:7], v7, s6, v[2:3]
	flat_load_dwordx2 a[18:19], v[2:3] offset:504
	flat_load_dwordx2 v[34:35], v[2:3] offset:608
	v_add_co_u32_e32 v2, vcc, 0x1f8, v2
	v_addc_co_u32_e32 v3, vcc, 0, v3, vcc
	v_cndmask_b32_e64 v25, 0, v3, s[4:5]
	v_cndmask_b32_e64 v24, 0, v2, s[4:5]
	s_mov_b32 s6, 1
	s_branch .LBB2_11
.LBB2_10:
	v_pk_mov_b32 v[24:25], v[22:23], v[22:23] op_sel:[0,1]
                                        ; implicit-def: $vgpr34_vgpr35
                                        ; implicit-def: $agpr18_agpr19
.LBB2_11:
	s_trap 2
	ds_read_b32 v2, v0
	s_waitcnt lgkmcnt(0)
	v_cmp_gt_i32_e32 vcc, 0, v2
	s_cbranch_vccnz .LBB2_13
; %bb.12:
	s_trap 2
	ds_read_b64 v[8:9], v0
	v_mov_b32_e32 v3, 0
	v_lshlrev_b64 v[2:3], 3, v[2:3]
	v_and_b32_e32 v6, 0xffff, v6
	s_movk_i32 s4, 0xa8
	s_waitcnt lgkmcnt(0)
	v_add_co_u32_e32 v2, vcc, v8, v2
	v_addc_co_u32_e32 v3, vcc, v9, v3, vcc
	flat_load_dwordx2 v[2:3], v[2:3]
	v_cmp_eq_u32_e32 vcc, 0, v5
	s_waitcnt vmcnt(0) lgkmcnt(0)
	v_mad_u64_u32 v[2:3], s[4:5], v6, s4, v[2:3]
	flat_load_dwordx2 a[20:21], v[2:3]
	flat_load_dwordx2 v[28:29], v[2:3] offset:104
	v_cndmask_b32_e32 v23, 0, v3, vcc
	v_cndmask_b32_e32 v22, 0, v2, vcc
	s_branch .LBB2_14
.LBB2_13:
                                        ; implicit-def: $vgpr28_vgpr29
                                        ; implicit-def: $agpr20_agpr21
.LBB2_14:
	v_subrev_u32_e32 v2, 64, v20
	v_accvgpr_read_b32 v0, a2
	v_pk_mov_b32 v[12:13], 0, 0
	v_cmp_le_i32_e32 vcc, v2, v0
	v_cmp_gt_i32_e64 s[4:5], s6, v5
	v_accvgpr_write_b32 a23, v13
	s_and_b64 s[22:23], vcc, s[4:5]
	v_accvgpr_write_b32 a22, v12
	v_accvgpr_read_b32 v1, a3
                                        ; implicit-def: $vgpr38_vgpr39
	s_and_saveexec_b64 s[4:5], s[22:23]
	s_cbranch_execz .LBB2_16
; %bb.15:
	flat_load_dwordx2 a[22:23], v[24:25] offset:56
	flat_load_dwordx2 v[38:39], v[24:25] offset:104
.LBB2_16:
	s_or_b64 exec, exec, s[4:5]
	v_accvgpr_read_b32 v0, a2
	v_cmp_gt_i32_e64 s[4:5], s6, v0
	v_pk_mov_b32 v[32:33], v[12:13], v[12:13] op_sel:[0,1]
	v_accvgpr_read_b32 v1, a3
                                        ; implicit-def: $vgpr52_vgpr53
	s_and_saveexec_b64 s[6:7], s[4:5]
	s_cbranch_execz .LBB2_18
; %bb.17:
	flat_load_dwordx2 v[32:33], v[22:23] offset:56
	s_waitcnt vmcnt(0) lgkmcnt(0)
	flat_load_dwordx2 v[52:53], v[32:33] glc
	s_waitcnt vmcnt(0)
	flat_load_dwordx4 v[12:15], v[22:23] offset:96
.LBB2_18:
	s_or_b64 exec, exec, s[6:7]
	v_cmp_ne_u64_e32 vcc, 0, v[50:51]
	v_pk_mov_b32 v[42:43], 0, 0
	s_and_saveexec_b64 s[24:25], vcc
	s_cbranch_execz .LBB2_660
; %bb.19:
	v_add_co_u32_e32 v0, vcc, v10, v48
	v_mov_b32_e32 v41, 0
	s_ashr_i32 s6, s8, 31
	v_addc_co_u32_e32 v1, vcc, v11, v49, vcc
	v_and_b32_e32 v2, 0x1fffff0, v26
	v_mov_b32_e32 v3, v41
	s_lshr_b32 s6, s6, 29
	v_add_co_u32_e32 v0, vcc, v0, v18
	s_ashr_i32 s21, s20, 31
	s_add_i32 s8, s8, s6
	v_pk_mov_b32 v[36:37], v[2:3], v[2:3] op_sel:[0,1]
	v_accvgpr_write_b32 a26, v0
	v_addc_co_u32_e32 v0, vcc, v1, v4, vcc
	s_lshl_b64 s[6:7], s[20:21], 2
	v_accvgpr_read_b32 v2, a6
	v_accvgpr_write_b32 a27, v0
	v_mov_b32_e32 v0, s7
	v_accvgpr_read_b32 v3, a7
	v_add_co_u32_e32 v1, vcc, s6, v2
	v_addc_co_u32_e32 v0, vcc, v3, v0, vcc
	v_add_co_u32_e32 v2, vcc, -4, v1
	v_addc_co_u32_e32 v3, vcc, -1, v0, vcc
	v_and_b32_e32 v0, 63, v31
	v_ashrrev_i32_e32 v21, 31, v20
	v_cmp_eq_u32_e64 s[12:13], 0, v0
	v_lshrrev_b32_e32 v0, 26, v21
	v_accvgpr_write_b32 a29, v3
	v_add_u32_e32 v0, v20, v0
	v_accvgpr_write_b32 a28, v2
	v_ashrrev_i32_e32 v8, 6, v0
	v_accvgpr_read_b32 v0, a2
	v_accvgpr_read_b32 v2, a10
	v_lshlrev_b32_e32 v6, 3, v0
	v_accvgpr_read_b32 v4, a12
	v_ashrrev_i32_e32 v7, 31, v6
	v_accvgpr_read_b32 v5, a13
	v_add_co_u32_e32 v9, vcc, v4, v6
	v_addc_co_u32_e32 v10, vcc, v5, v7, vcc
	v_accvgpr_read_b32 v3, a11
	v_add_co_u32_e32 v2, vcc, v2, v6
	v_accvgpr_write_b32 a34, v2
	v_addc_co_u32_e32 v2, vcc, v3, v7, vcc
	v_accvgpr_write_b32 a35, v2
	v_accvgpr_read_b32 v2, a8
	v_accvgpr_read_b32 v1, a3
	;; [unrolled: 1-line block ×3, first 2 shown]
	v_add_co_u32_e32 v48, vcc, v9, v2
	s_ashr_i32 s10, s8, 3
	v_addc_co_u32_e32 v49, vcc, v10, v3, vcc
	v_lshlrev_b64 v[0:1], 4, v[0:1]
	s_waitcnt vmcnt(0) lgkmcnt(0)
	v_accvgpr_read_b32 v2, a20
	s_ashr_i32 s60, s8, 7
	s_and_b32 s21, s10, -16
	v_accvgpr_read_b32 v4, a22
	v_accvgpr_read_b32 v3, a21
	v_add_co_u32_e32 v0, vcc, v2, v0
	v_accvgpr_write_b32 a16, v24
	v_accvgpr_write_b32 a14, v22
	s_cmp_gt_i32 s20, 2
	v_accvgpr_read_b32 v5, a23
	v_accvgpr_write_b32 a31, v9
	v_accvgpr_write_b32 a39, v0
	v_addc_co_u32_e32 v0, vcc, v3, v1, vcc
	s_mov_b32 s36, -1
	v_accvgpr_write_b32 a30, v8
	v_ashrrev_i32_e32 v1, 31, v8
	v_lshlrev_b32_e32 v56, 3, v20
	v_pk_mov_b32 v[8:9], 0, 0
	v_accvgpr_write_b32 a4, v50
	v_accvgpr_write_b32 a10, v32
	;; [unrolled: 1-line block ×5, first 2 shown]
	s_mov_b64 s[26:27], 0
	v_cmp_ne_u64_e64 s[6:7], 0, v[32:33]
	v_cmp_ne_u64_e64 s[8:9], 0, v[12:13]
	v_cmp_ne_u32_e64 s[10:11], 64, v20
	v_accvgpr_write_b32 a1, v16
	v_cmp_ne_u32_sdwa s[28:29], v16, v20 src0_sel:WORD_0 src1_sel:DWORD
	v_accvgpr_write_b32 a0, v31
	s_cselect_b64 s[30:31], -1, 0
	v_cmp_ne_u64_e64 s[14:15], 0, v[4:5]
	v_accvgpr_write_b32 a32, v6
	v_accvgpr_write_b32 a3, v7
	v_accvgpr_write_b32 a33, v10
	v_lshlrev_b32_e32 v45, 6, v20
	v_accvgpr_write_b32 a40, v0
	s_movk_i32 s61, 0x2710
	s_mov_b64 s[34:35], 0x7ffffff8
	s_movk_i32 s62, 0xff
	s_movk_i32 s63, 0xff80
	;; [unrolled: 1-line block ×3, first 2 shown]
	s_brev_b32 s65, 1
	s_mov_b32 s37, 0xffffff
	s_movk_i32 s66, 0x80
	s_mov_b64 s[38:39], 0x7f800000
	s_mov_b64 s[40:41], 0x47600001
	s_movk_i32 s67, 0x72
	s_mov_b64 s[42:43], 0xffffff
	s_movk_i32 s68, 0x7f
	s_mov_b32 s69, 0x7c0000
	s_brev_b32 s70, 62
	s_mov_b32 s71, 0xc0c0500
	s_mov_b32 s72, 0x6050400
	s_mov_b32 s73, 0x5040c00
	s_mov_b32 s74, 0xff00
	v_bfrev_b32_e32 v25, 28
	v_mov_b32_e32 v30, -1
	v_mov_b32_e32 v47, 0xc7600000
	v_mov_b32_e32 v6, 0x47600000
	;; [unrolled: 1-line block ×6, first 2 shown]
	v_accvgpr_write_b32 a41, v1
	v_ashrrev_i32_e32 v57, 31, v56
	v_lshlrev_b64 v[58:59], 4, v[20:21]
	v_pk_mov_b32 v[42:43], v[8:9], v[8:9] op_sel:[0,1]
	v_accvgpr_write_b32 a5, v51
	v_accvgpr_write_b32 a11, v33
	;; [unrolled: 1-line block ×3, first 2 shown]
	v_pk_mov_b32 v[16:17], v[28:29], v[28:29] op_sel:[0,1]
	s_branch .LBB2_21
.LBB2_20:                               ;   in Loop: Header=BB2_21 Depth=1
	s_or_b64 exec, exec, s[16:17]
	v_add_co_u32_e32 v34, vcc, 1, v34
	v_addc_co_u32_e32 v35, vcc, 0, v35, vcc
	v_add_co_u32_e32 v8, vcc, v8, v36
	v_addc_co_u32_e32 v9, vcc, 0, v9, vcc
	v_cmp_ge_u64_e32 vcc, v[8:9], v[50:51]
	s_or_b64 s[26:27], vcc, s[26:27]
	v_add_co_u32_e32 v48, vcc, v48, v36
	v_addc_co_u32_e32 v49, vcc, 0, v49, vcc
	s_andn2_b64 exec, exec, s[26:27]
	s_cbranch_execz .LBB2_659
.LBB2_21:                               ; =>This Loop Header: Depth=1
                                        ;     Child Loop BB2_28 Depth 2
                                        ;     Child Loop BB2_45 Depth 2
	;; [unrolled: 1-line block ×5, first 2 shown]
                                        ;       Child Loop BB2_85 Depth 3
                                        ;       Child Loop BB2_101 Depth 3
	;; [unrolled: 1-line block ×3, first 2 shown]
                                        ;         Child Loop BB2_122 Depth 4
                                        ;       Child Loop BB2_362 Depth 3
                                        ;       Child Loop BB2_78 Depth 3
                                        ;     Child Loop BB2_381 Depth 2
                                        ;       Child Loop BB2_389 Depth 3
                                        ;     Child Loop BB2_647 Depth 2
	v_accvgpr_read_b32 v0, a28
	v_accvgpr_read_b32 v1, a29
	s_waitcnt vmcnt(0) lgkmcnt(0)
	flat_load_dword v2, v[0:1]
	v_sub_co_u32_e32 v0, vcc, v50, v8
	v_subb_co_u32_e32 v1, vcc, v51, v9, vcc
	v_cmp_lt_u64_e32 vcc, v[36:37], v[0:1]
	v_cndmask_b32_e32 v3, v0, v36, vcc
	v_lshl_add_u32 v0, v3, 1, 14
	v_and_b32_e32 v0, 0x7fffff0, v0
	v_accvgpr_write_b32 a44, v0
	s_mov_b64 s[16:17], exec
	v_accvgpr_write_b32 a43, v9
	s_and_b64 s[18:19], s[16:17], s[6:7]
	v_accvgpr_write_b32 a42, v8
	s_mov_b64 exec, s[18:19]
	s_cbranch_execz .LBB2_37
; %bb.22:                               ;   in Loop: Header=BB2_21 Depth=1
	v_add_co_u32_e32 v0, vcc, 1, v14
	v_addc_co_u32_e32 v1, vcc, 0, v15, vcc
	v_add_co_u32_e32 v4, vcc, 8, v52
	v_addc_co_u32_e32 v5, vcc, 0, v53, vcc
	v_cmp_lt_u64_e32 vcc, v[4:5], v[0:1]
	s_and_saveexec_b64 s[18:19], vcc
	s_cbranch_execz .LBB2_34
; %bb.23:                               ;   in Loop: Header=BB2_21 Depth=1
	s_sleep 1
	flat_load_dwordx2 v[52:53], v[32:33] glc
	v_cmp_eq_u32_e32 vcc, 0, v24
	s_and_saveexec_b64 s[44:45], vcc
	s_cbranch_execz .LBB2_33
; %bb.24:                               ;   in Loop: Header=BB2_21 Depth=1
	v_cndmask_b32_e64 v4, 0, 1, vcc
	s_mov_b64 s[46:47], 0
                                        ; implicit-def: $sgpr48_sgpr49
	s_branch .LBB2_28
.LBB2_25:                               ;   in Loop: Header=BB2_28 Depth=2
	s_or_b64 exec, exec, s[56:57]
	s_orn2_b64 s[54:55], s[54:55], exec
.LBB2_26:                               ;   in Loop: Header=BB2_28 Depth=2
	s_or_b64 exec, exec, s[52:53]
	s_xor_b64 vcc, s[54:55], -1
	s_andn2_b64 s[48:49], s[48:49], exec
	s_and_b64 vcc, vcc, exec
	s_or_b64 s[48:49], s[48:49], vcc
.LBB2_27:                               ;   in Loop: Header=BB2_28 Depth=2
	s_or_b64 exec, exec, s[50:51]
	s_and_b64 vcc, exec, s[48:49]
	s_or_b64 s[46:47], vcc, s[46:47]
	s_andn2_b64 exec, exec, s[46:47]
	s_cbranch_execz .LBB2_32
.LBB2_28:                               ;   Parent Loop BB2_21 Depth=1
                                        ; =>  This Inner Loop Header: Depth=2
	s_waitcnt vmcnt(0) lgkmcnt(0)
	v_add_co_u32_e32 v8, vcc, 8, v52
	v_addc_co_u32_e32 v9, vcc, 0, v53, vcc
	v_cmp_lt_u64_e32 vcc, v[8:9], v[0:1]
	v_mov_b32_e32 v24, 0
	s_or_b64 s[48:49], s[48:49], exec
	s_and_saveexec_b64 s[50:51], vcc
	s_cbranch_execz .LBB2_27
; %bb.29:                               ;   in Loop: Header=BB2_28 Depth=2
	s_sleep 1
	flat_load_dwordx2 v[52:53], v[32:33] glc
	v_add_u32_e32 v4, 1, v4
	v_cmp_eq_u32_e32 vcc, s61, v4
	s_mov_b64 s[54:55], -1
	v_mov_b32_e32 v24, 0
	s_and_saveexec_b64 s[52:53], vcc
	s_cbranch_execz .LBB2_26
; %bb.30:                               ;   in Loop: Header=BB2_28 Depth=2
	s_trap 2
	ds_read_b64 v[4:5], v0
	v_mov_b32_e32 v24, 0
	s_waitcnt vmcnt(0) lgkmcnt(0)
	flat_load_dword v5, v[4:5] glc
	s_waitcnt vmcnt(0) lgkmcnt(0)
	buffer_invl2
	buffer_wbinvl1_vol
	v_mov_b32_e32 v4, 0
	v_cmp_ne_u32_e32 vcc, 0, v5
	s_and_saveexec_b64 s[56:57], vcc
	s_cbranch_execz .LBB2_25
; %bb.31:                               ;   in Loop: Header=BB2_28 Depth=2
	v_mov_b32_e32 v24, 1
	s_xor_b64 s[54:55], exec, -1
	ds_write_b32 v0, v5
	s_trap 2
	s_branch .LBB2_25
.LBB2_32:                               ;   in Loop: Header=BB2_21 Depth=1
	s_or_b64 exec, exec, s[46:47]
	v_accvgpr_read_b32 v8, a42
	v_accvgpr_read_b32 v9, a43
.LBB2_33:                               ;   in Loop: Header=BB2_21 Depth=1
	s_or_b64 exec, exec, s[44:45]
.LBB2_34:                               ;   in Loop: Header=BB2_21 Depth=1
	s_or_b64 exec, exec, s[18:19]
	s_and_saveexec_b64 s[18:19], s[8:9]
	s_cbranch_execz .LBB2_36
; %bb.35:                               ;   in Loop: Header=BB2_21 Depth=1
	v_and_b32_e32 v40, 0x7ffffff8, v14
	v_mov_b32_e32 v4, s21
	v_cmp_eq_u64_e32 vcc, s[34:35], v[40:41]
	v_accvgpr_read_b32 v5, a44
	v_cndmask_b32_e32 v4, v5, v4, vcc
	v_and_b32_e32 v8, 7, v14
	v_ashrrev_i32_e32 v5, 31, v4
	v_mad_u64_u32 v[8:9], vcc, v8, 24, v[12:13]
	flat_store_dwordx2 v[8:9], v[4:5] offset:8
	s_waitcnt vmcnt(0)
	v_accvgpr_read_b32 v8, a42
	v_accvgpr_read_b32 v9, a43
.LBB2_36:                               ;   in Loop: Header=BB2_21 Depth=1
	s_or_b64 exec, exec, s[18:19]
	v_pk_mov_b32 v[14:15], v[0:1], v[0:1] op_sel:[0,1]
.LBB2_37:                               ;   in Loop: Header=BB2_21 Depth=1
	s_or_b64 exec, exec, s[16:17]
	s_and_saveexec_b64 s[16:17], s[10:11]
	s_cbranch_execz .LBB2_56
; %bb.38:                               ;   in Loop: Header=BB2_21 Depth=1
	s_and_saveexec_b64 s[18:19], s[28:29]
	s_xor_b64 s[18:19], exec, s[18:19]
	s_cbranch_execz .LBB2_53
; %bb.39:                               ;   in Loop: Header=BB2_21 Depth=1
	s_and_saveexec_b64 s[44:45], s[12:13]
	s_cbranch_execz .LBB2_52
; %bb.40:                               ;   in Loop: Header=BB2_21 Depth=1
	s_mov_b64 s[48:49], exec
	v_mbcnt_lo_u32_b32 v0, s48, 0
	v_mbcnt_hi_u32_b32 v0, s49, v0
	v_cmp_eq_u32_e32 vcc, 0, v0
	s_waitcnt vmcnt(0) lgkmcnt(0)
	buffer_wbinvl1_vol
	s_and_saveexec_b64 s[46:47], vcc
	s_cbranch_execz .LBB2_42
; %bb.41:                               ;   in Loop: Header=BB2_21 Depth=1
	s_bcnt1_i32_b64 vcc_lo, s[48:49]
	v_mov_b32_e32 v40, vcc_lo
	ds_add_u64 v0, v[40:41]
	s_trap 2
.LBB2_42:                               ;   in Loop: Header=BB2_21 Depth=1
	s_or_b64 exec, exec, s[46:47]
	s_trap 2
	ds_read_b64 v[0:1], v0
	v_accvgpr_read_b32 v4, a30
	v_add_co_u32_e32 v42, vcc, v42, v4
	v_accvgpr_read_b32 v5, a41
	v_addc_co_u32_e32 v43, vcc, v43, v5, vcc
	s_waitcnt lgkmcnt(0)
	v_cmp_lt_u64_e32 vcc, v[0:1], v[42:43]
	s_and_saveexec_b64 s[46:47], vcc
	s_cbranch_execz .LBB2_51
; %bb.43:                               ;   in Loop: Header=BB2_21 Depth=1
	s_mov_b32 s58, 0
	s_mov_b64 s[48:49], 0
                                        ; implicit-def: $sgpr50_sgpr51
                                        ; implicit-def: $sgpr52_sgpr53
	s_branch .LBB2_45
.LBB2_44:                               ;   in Loop: Header=BB2_45 Depth=2
	s_or_b64 exec, exec, s[56:57]
	s_and_b64 vcc, exec, vcc
	s_or_b64 s[48:49], vcc, s[48:49]
	s_andn2_b64 vcc, s[50:51], exec
	s_and_b64 s[50:51], s[52:53], exec
	s_or_b64 s[50:51], vcc, s[50:51]
	s_andn2_b64 exec, exec, s[48:49]
	s_cbranch_execz .LBB2_49
.LBB2_45:                               ;   Parent Loop BB2_21 Depth=1
                                        ; =>  This Inner Loop Header: Depth=2
	s_add_i32 s58, s58, 1
	s_cmpk_lg_i32 s58, 0x2710
	s_cselect_b64 s[54:55], -1, 0
	s_and_b64 vcc, exec, s[54:55]
                                        ; implicit-def: $sgpr56_sgpr57
	s_cbranch_vccnz .LBB2_47
; %bb.46:                               ;   in Loop: Header=BB2_45 Depth=2
	s_trap 2
	ds_read_b64 v[0:1], v0
	s_andn2_b64 s[54:55], s[54:55], exec
	s_mov_b32 s58, 0
	s_mov_b64 s[56:57], -1
	s_waitcnt lgkmcnt(0)
	flat_load_dword v0, v[0:1] glc
	s_waitcnt vmcnt(0) lgkmcnt(0)
	buffer_invl2
	buffer_wbinvl1_vol
	v_cmp_eq_u32_e32 vcc, 0, v0
	s_and_b64 vcc, vcc, exec
	s_or_b64 s[54:55], s[54:55], vcc
.LBB2_47:                               ;   in Loop: Header=BB2_45 Depth=2
	s_andn2_b64 s[52:53], s[52:53], exec
	s_and_b64 s[56:57], s[56:57], exec
	s_mov_b64 vcc, -1
	s_or_b64 s[52:53], s[52:53], s[56:57]
	s_and_saveexec_b64 s[56:57], s[54:55]
	s_cbranch_execz .LBB2_44
; %bb.48:                               ;   in Loop: Header=BB2_45 Depth=2
	s_sleep 1
	s_trap 2
	ds_read_b64 v[0:1], v0
	s_andn2_b64 s[52:53], s[52:53], exec
	s_waitcnt lgkmcnt(0)
	v_cmp_ge_u64_e32 vcc, v[0:1], v[42:43]
	s_orn2_b64 vcc, vcc, exec
	s_branch .LBB2_44
.LBB2_49:                               ;   in Loop: Header=BB2_21 Depth=1
	s_or_b64 exec, exec, s[48:49]
	s_and_saveexec_b64 vcc, s[50:51]
	s_xor_b64 vcc, exec, vcc
	s_cbranch_execz .LBB2_51
; %bb.50:                               ;   in Loop: Header=BB2_21 Depth=1
	v_mov_b32_e32 v0, 1
	ds_write_b32 v0, v0
	s_trap 2
.LBB2_51:                               ;   in Loop: Header=BB2_21 Depth=1
	s_or_b64 exec, exec, s[46:47]
	;;#ASMSTART
	s_wakeup
	;;#ASMEND
.LBB2_52:                               ;   in Loop: Header=BB2_21 Depth=1
	s_or_b64 exec, exec, s[44:45]
.LBB2_53:                               ;   in Loop: Header=BB2_21 Depth=1
	s_andn2_saveexec_b64 s[18:19], s[18:19]
	s_cbranch_execz .LBB2_55
; %bb.54:                               ;   in Loop: Header=BB2_21 Depth=1
	s_waitcnt vmcnt(0) lgkmcnt(0)
	buffer_wbinvl1_vol
	s_barrier
.LBB2_55:                               ;   in Loop: Header=BB2_21 Depth=1
	s_or_b64 exec, exec, s[18:19]
.LBB2_56:                               ;   in Loop: Header=BB2_21 Depth=1
	s_or_b64 exec, exec, s[16:17]
	v_accvgpr_read_b32 v0, a32
	v_sub_u32_e32 v60, v3, v0
	v_cmp_lt_i32_e64 s[16:17], 0, v60
	v_and_b32_e32 v1, 7, v16
	v_accvgpr_read_b32 v0, a2
	s_and_saveexec_b64 s[18:19], s[16:17]
	s_cbranch_execz .LBB2_64
; %bb.57:                               ;   in Loop: Header=BB2_21 Depth=1
	s_waitcnt vmcnt(0) lgkmcnt(0)
	v_ashrrev_i32_e32 v0, 31, v2
	v_pk_mov_b32 v[28:29], v[16:17], v[16:17] op_sel:[0,1]
	v_mov_b32_e32 v3, v16
	v_add_co_u32_e64 v8, vcc, 0, 0
	v_accvgpr_read_b32 v16, a26
	v_accvgpr_read_b32 v9, a27
	v_mul_lo_u32 v4, v1, s60
	v_addc_co_u32_e32 v3, vcc, 1, v3, vcc
	v_mad_u64_u32 v[10:11], vcc, v16, v2, v[48:49]
	v_mul_lo_u32 v9, v9, v2
	v_mul_lo_u32 v0, v16, v0
	v_ashrrev_i32_e32 v5, 31, v4
	v_add3_u32 v11, v9, v11, v0
	v_mul_lo_u32 v0, v16, v2
	v_add_lshl_u32 v9, v48, v0, 3
	v_lshlrev_b64 v[4:5], 4, v[4:5]
	v_accvgpr_read_b32 v0, a39
	v_add_co_u32_e32 v18, vcc, v0, v4
	v_accvgpr_read_b32 v0, a40
	v_addc_co_u32_e32 v19, vcc, v0, v5, vcc
	s_mov_b64 s[44:45], 0
	v_mov_b32_e32 v21, v60
	v_accvgpr_read_b32 v0, a2
	s_branch .LBB2_59
.LBB2_58:                               ;   in Loop: Header=BB2_59 Depth=2
	s_or_b64 exec, exec, s[46:47]
	v_add_co_u32_e32 v10, vcc, v10, v56
	s_waitcnt vmcnt(0)
	v_alignbit_b32 v2, v23, v2, v9
	v_alignbit_b32 v4, v22, v23, v9
	v_sub_u32_e32 v21, v21, v56
	v_addc_co_u32_e32 v11, vcc, v11, v57, vcc
	v_or_b32_e32 v2, v8, v2
	v_or_b32_e32 v4, v8, v4
	v_mov_b32_e32 v5, v3
	v_cmp_gt_i32_e32 vcc, 1, v21
	global_store_dwordx4 v[18:19], v[2:5], off
	s_or_b64 s[44:45], vcc, s[44:45]
	v_add_co_u32_e32 v18, vcc, v18, v58
	v_add_u32_e32 v0, v0, v20
	v_add_u32_e32 v9, v9, v45
	v_addc_co_u32_e32 v19, vcc, v19, v59, vcc
	s_andn2_b64 exec, exec, s[44:45]
	s_cbranch_execz .LBB2_63
.LBB2_59:                               ;   Parent Loop BB2_21 Depth=1
                                        ; =>  This Inner Loop Header: Depth=2
	v_and_b32_e32 v4, -4, v10
	v_mov_b32_e32 v5, v11
	global_load_dword v2, v[4:5], off glc slc
	v_min_u32_e32 v16, 8, v21
	v_and_b32_e32 v17, 3, v10
	v_add_co_u32_e32 v26, vcc, v17, v16
	v_addc_co_u32_e64 v27, vcc, 0, 0, vcc
	v_mov_b32_e32 v22, 0
	v_cmp_lt_u64_e32 vcc, 4, v[26:27]
	v_mov_b32_e32 v23, 0
	s_and_saveexec_b64 s[46:47], vcc
	s_cbranch_execz .LBB2_61
; %bb.60:                               ;   in Loop: Header=BB2_59 Depth=2
	global_load_dword v23, v[4:5], off offset:4 glc slc
.LBB2_61:                               ;   in Loop: Header=BB2_59 Depth=2
	s_or_b64 exec, exec, s[46:47]
	v_cmp_lt_u64_e32 vcc, 8, v[26:27]
	s_and_saveexec_b64 s[46:47], vcc
	s_cbranch_execz .LBB2_58
; %bb.62:                               ;   in Loop: Header=BB2_59 Depth=2
	global_load_dword v22, v[4:5], off offset:8 glc slc
	s_branch .LBB2_58
.LBB2_63:                               ;   in Loop: Header=BB2_21 Depth=1
	s_or_b64 exec, exec, s[44:45]
	v_accvgpr_read_b32 v8, a42
	v_accvgpr_read_b32 v9, a43
	v_pk_mov_b32 v[16:17], v[28:29], v[28:29] op_sel:[0,1]
.LBB2_64:                               ;   in Loop: Header=BB2_21 Depth=1
	s_or_b64 exec, exec, s[18:19]
	v_and_b32_e32 v40, 0x7ffffff8, v16
	v_cmp_eq_u64_e32 vcc, s[34:35], v[40:41]
	v_cmp_gt_i32_e64 s[18:19], s60, v0
	s_and_b64 s[18:19], vcc, s[18:19]
	s_and_saveexec_b64 s[44:45], s[18:19]
	s_cbranch_execz .LBB2_67
; %bb.65:                               ;   in Loop: Header=BB2_21 Depth=1
	v_mul_lo_u32 v4, v1, s60
	v_mov_b32_e32 v1, v16
	s_waitcnt vmcnt(0) lgkmcnt(0)
	v_add_co_u32_e64 v2, vcc, 0, 0
	v_ashrrev_i32_e32 v5, 31, v4
	v_addc_co_u32_e32 v3, vcc, 1, v1, vcc
	v_ashrrev_i32_e32 v1, 31, v0
	v_lshlrev_b64 v[8:9], 4, v[0:1]
	v_lshlrev_b64 v[4:5], 4, v[4:5]
	v_add_co_u32_e32 v1, vcc, v8, v4
	v_addc_co_u32_e32 v4, vcc, v9, v5, vcc
	v_accvgpr_read_b32 v8, a20
	v_accvgpr_read_b32 v9, a21
	v_add_co_u32_e32 v10, vcc, v8, v1
	v_addc_co_u32_e32 v11, vcc, v9, v4, vcc
	v_accvgpr_read_b32 v8, a42
	v_accvgpr_read_b32 v9, a43
	s_mov_b64 s[46:47], 0
.LBB2_66:                               ;   Parent Loop BB2_21 Depth=1
                                        ; =>  This Inner Loop Header: Depth=2
	v_mov_b32_e32 v4, v2
	v_mov_b32_e32 v5, v3
	v_add_u32_e32 v0, v0, v20
	global_store_dwordx4 v[10:11], v[2:5], off
	v_cmp_le_i32_e32 vcc, s60, v0
	v_add_co_u32_e64 v10, s[18:19], v10, v58
	s_or_b64 s[46:47], vcc, s[46:47]
	v_addc_co_u32_e64 v11, vcc, v11, v59, s[18:19]
	s_andn2_b64 exec, exec, s[46:47]
	s_cbranch_execnz .LBB2_66
.LBB2_67:                               ;   in Loop: Header=BB2_21 Depth=1
	s_or_b64 exec, exec, s[44:45]
	v_accvgpr_read_b32 v0, a8
	v_accvgpr_read_b32 v1, a9
	s_waitcnt vmcnt(0) lgkmcnt(0)
	v_add_co_u32_e32 v2, vcc, v8, v0
	v_addc_co_u32_e32 v1, vcc, v9, v1, vcc
	v_add_co_u32_e64 v28, s[18:19], 1, v16
	s_andn2_b64 vcc, exec, s[30:31]
	v_addc_co_u32_e64 v29, s[18:19], 0, v17, s[18:19]
	s_cbranch_vccnz .LBB2_373
; %bb.68:                               ;   in Loop: Header=BB2_21 Depth=1
	v_accvgpr_read_b32 v0, a31
	v_accvgpr_write_b32 a45, v2
	v_add_co_u32_e32 v2, vcc, v0, v2
	v_accvgpr_read_b32 v0, a33
	v_addc_co_u32_e32 v3, vcc, v0, v1, vcc
	v_accvgpr_write_b32 a36, v48
	v_accvgpr_write_b32 a49, v3
	;; [unrolled: 1-line block ×5, first 2 shown]
	v_add_u16_e32 v48, 1, v16
	s_mov_b32 s75, 2
	s_branch .LBB2_70
.LBB2_69:                               ;   in Loop: Header=BB2_70 Depth=2
	s_or_b64 exec, exec, s[44:45]
	v_add_co_u32_e32 v34, vcc, 1, v34
	v_addc_co_u32_e32 v35, vcc, 0, v35, vcc
	s_add_i32 s75, s75, 1
	v_add_co_u32_e32 v28, vcc, 1, v28
	v_addc_co_u32_e32 v29, vcc, 0, v29, vcc
	s_cmp_eq_u32 s75, s20
	v_add_u16_e32 v48, 1, v48
	s_cbranch_scc1 .LBB2_374
.LBB2_70:                               ;   Parent Loop BB2_21 Depth=1
                                        ; =>  This Loop Header: Depth=2
                                        ;       Child Loop BB2_85 Depth 3
                                        ;       Child Loop BB2_101 Depth 3
	;; [unrolled: 1-line block ×3, first 2 shown]
                                        ;         Child Loop BB2_122 Depth 4
                                        ;       Child Loop BB2_362 Depth 3
                                        ;       Child Loop BB2_78 Depth 3
	s_sub_i32 s18, s20, s75
	s_ashr_i32 s19, s18, 31
	s_lshl_b64 s[18:19], s[18:19], 2
	s_waitcnt vmcnt(0) lgkmcnt(0)
	v_accvgpr_read_b32 v2, a6
	v_mov_b32_e32 v1, s19
	v_accvgpr_read_b32 v3, a7
	v_add_co_u32_e32 v0, vcc, s18, v2
	v_addc_co_u32_e32 v1, vcc, v3, v1, vcc
	flat_load_dword v2, v[0:1]
	s_and_saveexec_b64 s[18:19], s[6:7]
	s_cbranch_execnz .LBB2_79
; %bb.71:                               ;   in Loop: Header=BB2_70 Depth=2
	s_or_b64 exec, exec, s[18:19]
	s_and_saveexec_b64 s[18:19], s[10:11]
	s_cbranch_execnz .LBB2_94
.LBB2_72:                               ;   in Loop: Header=BB2_70 Depth=2
	s_or_b64 exec, exec, s[18:19]
	v_accvgpr_read_b32 v0, a2
	s_and_saveexec_b64 s[44:45], s[16:17]
	s_cbranch_execnz .LBB2_112
.LBB2_73:                               ;   in Loop: Header=BB2_70 Depth=2
	s_or_b64 exec, exec, s[44:45]
	s_and_saveexec_b64 s[18:19], s[10:11]
	s_cbranch_execnz .LBB2_355
.LBB2_74:                               ;   in Loop: Header=BB2_70 Depth=2
	s_or_b64 exec, exec, s[18:19]
	s_and_saveexec_b64 s[18:19], s[14:15]
	s_cbranch_execz .LBB2_76
.LBB2_75:                               ;   in Loop: Header=BB2_70 Depth=2
	v_add_co_u32_e32 v38, vcc, 1, v38
	s_waitcnt vmcnt(0) lgkmcnt(0)
	v_accvgpr_read_b32 v2, a22
	v_addc_co_u32_e32 v39, vcc, 0, v39, vcc
	v_accvgpr_read_b32 v3, a23
	flat_store_dwordx2 v[2:3], v[38:39]
.LBB2_76:                               ;   in Loop: Header=BB2_70 Depth=2
	s_or_b64 exec, exec, s[18:19]
	v_and_b32_e32 v40, 0x7ffffff8, v28
	v_cmp_eq_u64_e32 vcc, s[34:35], v[40:41]
	v_cmp_gt_i32_e64 s[18:19], s60, v0
	s_and_b64 s[18:19], vcc, s[18:19]
	s_and_saveexec_b64 s[44:45], s[18:19]
	s_cbranch_execz .LBB2_69
; %bb.77:                               ;   in Loop: Header=BB2_70 Depth=2
	v_and_b32_e32 v1, 7, v48
	s_waitcnt vmcnt(0) lgkmcnt(0)
	v_mul_lo_u32 v2, s60, v1
	v_ashrrev_i32_e32 v3, 31, v2
	v_lshlrev_b64 v[4:5], 4, v[2:3]
	v_mov_b32_e32 v1, v28
	v_add_co_u32_e64 v2, vcc, 0, 0
	v_addc_co_u32_e32 v3, vcc, 1, v1, vcc
	v_ashrrev_i32_e32 v1, 31, v0
	v_lshlrev_b64 v[8:9], 4, v[0:1]
	v_add_co_u32_e32 v1, vcc, v8, v4
	v_addc_co_u32_e32 v4, vcc, v9, v5, vcc
	v_accvgpr_read_b32 v8, a20
	v_accvgpr_read_b32 v9, a21
	v_add_co_u32_e32 v10, vcc, v8, v1
	v_addc_co_u32_e32 v11, vcc, v9, v4, vcc
	v_accvgpr_read_b32 v8, a42
	v_accvgpr_read_b32 v9, a43
	s_mov_b64 s[46:47], 0
.LBB2_78:                               ;   Parent Loop BB2_21 Depth=1
                                        ;     Parent Loop BB2_70 Depth=2
                                        ; =>    This Inner Loop Header: Depth=3
	v_mov_b32_e32 v4, v2
	v_mov_b32_e32 v5, v3
	v_add_u32_e32 v0, v0, v20
	global_store_dwordx4 v[10:11], v[2:5], off
	v_cmp_le_i32_e32 vcc, s60, v0
	v_add_co_u32_e64 v10, s[18:19], v10, v58
	s_or_b64 s[46:47], vcc, s[46:47]
	v_addc_co_u32_e64 v11, vcc, v11, v59, s[18:19]
	s_andn2_b64 exec, exec, s[46:47]
	s_cbranch_execnz .LBB2_78
	s_branch .LBB2_69
.LBB2_79:                               ;   in Loop: Header=BB2_70 Depth=2
	v_add_co_u32_e32 v0, vcc, 1, v14
	v_addc_co_u32_e32 v1, vcc, 0, v15, vcc
	v_add_co_u32_e32 v4, vcc, 8, v52
	v_addc_co_u32_e32 v5, vcc, 0, v53, vcc
	v_cmp_lt_u64_e32 vcc, v[4:5], v[0:1]
	s_and_saveexec_b64 s[44:45], vcc
	s_cbranch_execz .LBB2_91
; %bb.80:                               ;   in Loop: Header=BB2_70 Depth=2
	s_sleep 1
	flat_load_dwordx2 v[52:53], v[32:33] glc
	v_cmp_eq_u32_e32 vcc, 0, v24
	s_and_saveexec_b64 s[46:47], vcc
	s_cbranch_execz .LBB2_90
; %bb.81:                               ;   in Loop: Header=BB2_70 Depth=2
	v_cndmask_b32_e64 v3, 0, 1, vcc
	s_mov_b64 s[48:49], 0
                                        ; implicit-def: $sgpr50_sgpr51
	s_branch .LBB2_85
.LBB2_82:                               ;   in Loop: Header=BB2_85 Depth=3
	s_or_b64 exec, exec, s[58:59]
	s_orn2_b64 s[56:57], s[56:57], exec
.LBB2_83:                               ;   in Loop: Header=BB2_85 Depth=3
	s_or_b64 exec, exec, s[54:55]
	s_xor_b64 vcc, s[56:57], -1
	s_andn2_b64 s[50:51], s[50:51], exec
	s_and_b64 vcc, vcc, exec
	s_or_b64 s[50:51], s[50:51], vcc
.LBB2_84:                               ;   in Loop: Header=BB2_85 Depth=3
	s_or_b64 exec, exec, s[52:53]
	s_and_b64 vcc, exec, s[50:51]
	s_or_b64 s[48:49], vcc, s[48:49]
	s_andn2_b64 exec, exec, s[48:49]
	s_cbranch_execz .LBB2_89
.LBB2_85:                               ;   Parent Loop BB2_21 Depth=1
                                        ;     Parent Loop BB2_70 Depth=2
                                        ; =>    This Inner Loop Header: Depth=3
	s_waitcnt vmcnt(0) lgkmcnt(0)
	v_add_co_u32_e32 v4, vcc, 8, v52
	v_addc_co_u32_e32 v5, vcc, 0, v53, vcc
	v_cmp_lt_u64_e32 vcc, v[4:5], v[0:1]
	v_mov_b32_e32 v24, 0
	s_or_b64 s[50:51], s[50:51], exec
	s_and_saveexec_b64 s[52:53], vcc
	s_cbranch_execz .LBB2_84
; %bb.86:                               ;   in Loop: Header=BB2_85 Depth=3
	s_sleep 1
	flat_load_dwordx2 v[52:53], v[32:33] glc
	v_add_u32_e32 v3, 1, v3
	v_cmp_eq_u32_e32 vcc, s61, v3
	s_mov_b64 s[56:57], -1
	v_mov_b32_e32 v24, 0
	s_and_saveexec_b64 s[54:55], vcc
	s_cbranch_execz .LBB2_83
; %bb.87:                               ;   in Loop: Header=BB2_85 Depth=3
	s_trap 2
	ds_read_b64 v[4:5], v0
	v_mov_b32_e32 v3, 0
	v_mov_b32_e32 v24, 0
	s_waitcnt vmcnt(0) lgkmcnt(0)
	flat_load_dword v4, v[4:5] glc
	s_waitcnt vmcnt(0) lgkmcnt(0)
	buffer_invl2
	buffer_wbinvl1_vol
	v_cmp_ne_u32_e32 vcc, 0, v4
	s_and_saveexec_b64 s[58:59], vcc
	s_cbranch_execz .LBB2_82
; %bb.88:                               ;   in Loop: Header=BB2_85 Depth=3
	v_mov_b32_e32 v24, 1
	s_xor_b64 s[56:57], exec, -1
	ds_write_b32 v0, v4
	s_trap 2
	s_branch .LBB2_82
.LBB2_89:                               ;   in Loop: Header=BB2_70 Depth=2
	s_or_b64 exec, exec, s[48:49]
.LBB2_90:                               ;   in Loop: Header=BB2_70 Depth=2
	s_or_b64 exec, exec, s[46:47]
.LBB2_91:                               ;   in Loop: Header=BB2_70 Depth=2
	s_or_b64 exec, exec, s[44:45]
	s_and_saveexec_b64 s[44:45], s[8:9]
	s_cbranch_execz .LBB2_93
; %bb.92:                               ;   in Loop: Header=BB2_70 Depth=2
	v_and_b32_e32 v40, 0x7ffffff8, v14
	v_mov_b32_e32 v3, s21
	v_cmp_eq_u64_e32 vcc, s[34:35], v[40:41]
	v_accvgpr_read_b32 v4, a44
	v_cndmask_b32_e32 v4, v4, v3, vcc
	v_and_b32_e32 v3, 7, v14
	v_ashrrev_i32_e32 v5, 31, v4
	v_mad_u64_u32 v[8:9], vcc, v3, 24, v[12:13]
	flat_store_dwordx2 v[8:9], v[4:5] offset:8
	s_waitcnt vmcnt(0)
	v_accvgpr_read_b32 v8, a42
	v_accvgpr_read_b32 v9, a43
.LBB2_93:                               ;   in Loop: Header=BB2_70 Depth=2
	s_or_b64 exec, exec, s[44:45]
	v_pk_mov_b32 v[14:15], v[0:1], v[0:1] op_sel:[0,1]
	s_or_b64 exec, exec, s[18:19]
	s_and_saveexec_b64 s[18:19], s[10:11]
	s_cbranch_execz .LBB2_72
.LBB2_94:                               ;   in Loop: Header=BB2_70 Depth=2
	s_and_saveexec_b64 vcc, s[28:29]
	s_xor_b64 s[44:45], exec, vcc
	s_cbranch_execz .LBB2_109
; %bb.95:                               ;   in Loop: Header=BB2_70 Depth=2
	s_and_saveexec_b64 s[46:47], s[12:13]
	s_cbranch_execz .LBB2_108
; %bb.96:                               ;   in Loop: Header=BB2_70 Depth=2
	s_mov_b64 s[50:51], exec
	v_mbcnt_lo_u32_b32 v0, s50, 0
	v_mbcnt_hi_u32_b32 v0, s51, v0
	v_cmp_eq_u32_e32 vcc, 0, v0
	s_waitcnt vmcnt(0) lgkmcnt(0)
	buffer_wbinvl1_vol
	s_and_saveexec_b64 s[48:49], vcc
	s_cbranch_execz .LBB2_98
; %bb.97:                               ;   in Loop: Header=BB2_70 Depth=2
	s_bcnt1_i32_b64 vcc_lo, s[50:51]
	v_mov_b32_e32 v40, vcc_lo
	ds_add_u64 v0, v[40:41]
	s_trap 2
.LBB2_98:                               ;   in Loop: Header=BB2_70 Depth=2
	s_or_b64 exec, exec, s[48:49]
	s_trap 2
	ds_read_b64 v[0:1], v0
	v_accvgpr_read_b32 v4, a30
	v_add_co_u32_e32 v42, vcc, v42, v4
	v_accvgpr_read_b32 v3, a41
	v_addc_co_u32_e32 v43, vcc, v43, v3, vcc
	s_waitcnt lgkmcnt(0)
	v_cmp_lt_u64_e32 vcc, v[0:1], v[42:43]
	s_and_saveexec_b64 s[48:49], vcc
	s_cbranch_execz .LBB2_107
; %bb.99:                               ;   in Loop: Header=BB2_70 Depth=2
	s_mov_b32 s76, 0
	s_mov_b64 s[50:51], 0
                                        ; implicit-def: $sgpr52_sgpr53
                                        ; implicit-def: $sgpr54_sgpr55
	s_branch .LBB2_101
.LBB2_100:                              ;   in Loop: Header=BB2_101 Depth=3
	s_or_b64 exec, exec, s[58:59]
	s_and_b64 vcc, exec, vcc
	s_or_b64 s[50:51], vcc, s[50:51]
	s_andn2_b64 vcc, s[52:53], exec
	s_and_b64 s[52:53], s[54:55], exec
	s_or_b64 s[52:53], vcc, s[52:53]
	s_andn2_b64 exec, exec, s[50:51]
	s_cbranch_execz .LBB2_105
.LBB2_101:                              ;   Parent Loop BB2_21 Depth=1
                                        ;     Parent Loop BB2_70 Depth=2
                                        ; =>    This Inner Loop Header: Depth=3
	s_add_i32 s76, s76, 1
	s_cmpk_lg_i32 s76, 0x2710
	s_cselect_b64 s[56:57], -1, 0
	s_and_b64 vcc, exec, s[56:57]
                                        ; implicit-def: $sgpr58_sgpr59
	s_cbranch_vccnz .LBB2_103
; %bb.102:                              ;   in Loop: Header=BB2_101 Depth=3
	s_trap 2
	ds_read_b64 v[0:1], v0
	s_andn2_b64 s[56:57], s[56:57], exec
	s_mov_b32 s76, 0
	s_mov_b64 s[58:59], -1
	s_waitcnt lgkmcnt(0)
	flat_load_dword v0, v[0:1] glc
	s_waitcnt vmcnt(0) lgkmcnt(0)
	buffer_invl2
	buffer_wbinvl1_vol
	v_cmp_eq_u32_e32 vcc, 0, v0
	s_and_b64 vcc, vcc, exec
	s_or_b64 s[56:57], s[56:57], vcc
.LBB2_103:                              ;   in Loop: Header=BB2_101 Depth=3
	s_andn2_b64 s[54:55], s[54:55], exec
	s_and_b64 s[58:59], s[58:59], exec
	s_mov_b64 vcc, -1
	s_or_b64 s[54:55], s[54:55], s[58:59]
	s_and_saveexec_b64 s[58:59], s[56:57]
	s_cbranch_execz .LBB2_100
; %bb.104:                              ;   in Loop: Header=BB2_101 Depth=3
	s_sleep 1
	s_trap 2
	ds_read_b64 v[0:1], v0
	s_andn2_b64 s[54:55], s[54:55], exec
	s_waitcnt lgkmcnt(0)
	v_cmp_ge_u64_e32 vcc, v[0:1], v[42:43]
	s_orn2_b64 vcc, vcc, exec
	s_branch .LBB2_100
.LBB2_105:                              ;   in Loop: Header=BB2_70 Depth=2
	s_or_b64 exec, exec, s[50:51]
	s_and_saveexec_b64 vcc, s[52:53]
	s_xor_b64 vcc, exec, vcc
	s_cbranch_execz .LBB2_107
; %bb.106:                              ;   in Loop: Header=BB2_70 Depth=2
	v_mov_b32_e32 v0, 1
	ds_write_b32 v0, v0
	s_trap 2
.LBB2_107:                              ;   in Loop: Header=BB2_70 Depth=2
	s_or_b64 exec, exec, s[48:49]
	;;#ASMSTART
	s_wakeup
	;;#ASMEND
.LBB2_108:                              ;   in Loop: Header=BB2_70 Depth=2
	s_or_b64 exec, exec, s[46:47]
.LBB2_109:                              ;   in Loop: Header=BB2_70 Depth=2
	s_andn2_saveexec_b64 vcc, s[44:45]
	s_cbranch_execz .LBB2_111
; %bb.110:                              ;   in Loop: Header=BB2_70 Depth=2
	s_waitcnt vmcnt(0) lgkmcnt(0)
	buffer_wbinvl1_vol
	s_barrier
.LBB2_111:                              ;   in Loop: Header=BB2_70 Depth=2
	s_or_b64 exec, exec, vcc
	s_or_b64 exec, exec, s[18:19]
	v_accvgpr_read_b32 v0, a2
	s_and_saveexec_b64 s[44:45], s[16:17]
	s_cbranch_execz .LBB2_73
.LBB2_112:                              ;   in Loop: Header=BB2_70 Depth=2
	v_accvgpr_read_b32 v4, a48
	s_waitcnt vmcnt(0) lgkmcnt(0)
	v_ashrrev_i32_e32 v0, 31, v2
	v_accvgpr_read_b32 v3, a26
	v_accvgpr_read_b32 v5, a49
	;; [unrolled: 1-line block ×3, first 2 shown]
	v_accvgpr_write_b32 a38, v45
	v_mad_u64_u32 v[44:45], s[18:19], v3, v2, v[4:5]
	v_mul_lo_u32 v1, v1, v2
	v_mul_lo_u32 v0, v3, v0
	v_add3_u32 v45, v1, v45, v0
	v_and_b32_e32 v0, 7, v34
	v_mul_lo_u32 v0, v0, s60
	v_ashrrev_i32_e32 v1, 31, v0
	v_lshlrev_b64 v[0:1], 4, v[0:1]
	v_accvgpr_read_b32 v2, a18
	v_add_co_u32_e32 v49, vcc, v2, v0
	v_and_b32_e32 v0, 7, v28
	v_accvgpr_read_b32 v3, a19
	v_mul_lo_u32 v0, v0, s60
	v_addc_co_u32_e32 v31, vcc, v3, v1, vcc
	v_ashrrev_i32_e32 v1, 31, v0
	v_lshlrev_b64 v[0:1], 4, v[0:1]
	v_accvgpr_read_b32 v2, a20
	v_accvgpr_read_b32 v3, a21
	v_add_co_u32_e32 v9, vcc, v2, v0
	v_addc_co_u32_e32 v32, vcc, v3, v1, vcc
	v_mov_b32_e32 v1, v28
	v_add_co_u32_e64 v33, vcc, 0, 0
	v_add_u32_e32 v8, 1, v34
	v_addc_co_u32_e32 v3, vcc, 1, v1, vcc
	s_mov_b64 s[46:47], 0
	v_mov_b32_e32 v21, v60
	v_accvgpr_read_b32 v0, a2
	s_branch .LBB2_114
.LBB2_113:                              ;   in Loop: Header=BB2_114 Depth=3
	s_or_b64 exec, exec, s[18:19]
	v_and_b32_e32 v2, 0xff, v61
	v_lshlrev_b32_e32 v11, 8, v17
	v_add_co_u32_e32 v44, vcc, v44, v56
	v_lshlrev_b32_e32 v2, 16, v2
	v_perm_b32 v1, v11, v1, s71
	v_lshlrev_b32_e32 v11, 8, v26
	v_addc_co_u32_e32 v45, vcc, v45, v57, vcc
	v_lshl_or_b32 v2, v16, 24, v2
	v_lshlrev_b32_e32 v16, 24, v10
	v_perm_b32 v10, v11, v19, s71
	v_lshl_or_b32 v17, v27, 16, v10
	v_add_co_u32_e32 v10, vcc, v9, v4
	v_addc_co_u32_e32 v11, vcc, v32, v5, vcc
	v_sub_u32_e32 v21, v21, v56
	v_cmp_gt_i32_e32 vcc, 1, v21
	v_or3_b32 v2, v2, v1, v33
	v_or3_b32 v4, v16, v17, v33
	v_mov_b32_e32 v5, v3
	s_or_b64 s[46:47], vcc, s[46:47]
	v_add_u32_e32 v0, v0, v20
	global_store_dwordx4 v[10:11], v[2:5], off
	s_andn2_b64 exec, exec, s[46:47]
	s_cbranch_execz .LBB2_354
.LBB2_114:                              ;   Parent Loop BB2_21 Depth=1
                                        ;     Parent Loop BB2_70 Depth=2
                                        ; =>    This Loop Header: Depth=3
                                        ;         Child Loop BB2_122 Depth 4
	v_and_b32_e32 v4, -4, v44
	v_mov_b32_e32 v5, v45
	global_load_dword v2, v[4:5], off glc slc
	v_min_u32_e32 v1, 8, v21
	v_and_b32_e32 v10, 3, v44
	v_add_co_u32_e32 v10, vcc, v10, v1
	v_addc_co_u32_e64 v11, s[18:19], 0, 0, vcc
	v_mov_b32_e32 v62, 0
	v_cmp_lt_u64_e32 vcc, 4, v[10:11]
	v_mov_b32_e32 v26, 0
	s_and_saveexec_b64 s[18:19], vcc
	s_cbranch_execz .LBB2_116
; %bb.115:                              ;   in Loop: Header=BB2_114 Depth=3
	global_load_dword v26, v[4:5], off offset:4 glc slc
.LBB2_116:                              ;   in Loop: Header=BB2_114 Depth=3
	s_or_b64 exec, exec, s[18:19]
	v_cmp_lt_u64_e32 vcc, 8, v[10:11]
	s_and_saveexec_b64 s[18:19], vcc
	s_cbranch_execz .LBB2_118
; %bb.117:                              ;   in Loop: Header=BB2_114 Depth=3
	global_load_dword v62, v[4:5], off offset:8 glc slc
.LBB2_118:                              ;   in Loop: Header=BB2_114 Depth=3
	s_or_b64 exec, exec, s[18:19]
	v_ashrrev_i32_e32 v1, 31, v0
	v_lshlrev_b64 v[4:5], 4, v[0:1]
	v_add_co_u32_e32 v10, vcc, v49, v4
	v_addc_co_u32_e32 v11, vcc, v31, v5, vcc
	global_load_dwordx4 v[16:19], v[10:11], off glc slc
	v_cmp_eq_u32_e32 vcc, 0, v24
	s_and_saveexec_b64 s[48:49], vcc
	s_cbranch_execz .LBB2_130
; %bb.119:                              ;   in Loop: Header=BB2_114 Depth=3
	s_waitcnt vmcnt(0)
	v_cmp_ne_u32_e32 vcc, v8, v17
	v_cmp_ne_u32_e64 s[18:19], v8, v19
	s_or_b64 s[18:19], vcc, s[18:19]
	v_mov_b32_e32 v24, 0
	s_and_saveexec_b64 s[50:51], s[18:19]
	s_cbranch_execz .LBB2_129
; %bb.120:                              ;   in Loop: Header=BB2_114 Depth=3
	s_mov_b32 s56, 1
	s_mov_b64 s[52:53], 0
	v_mov_b32_e32 v24, 0
	s_branch .LBB2_122
.LBB2_121:                              ;   in Loop: Header=BB2_122 Depth=4
	s_or_b64 exec, exec, s[54:55]
	s_and_b64 s[18:19], exec, s[18:19]
	s_or_b64 s[52:53], s[18:19], s[52:53]
	s_andn2_b64 exec, exec, s[52:53]
	s_cbranch_execz .LBB2_128
.LBB2_122:                              ;   Parent Loop BB2_21 Depth=1
                                        ;     Parent Loop BB2_70 Depth=2
                                        ;       Parent Loop BB2_114 Depth=3
                                        ; =>      This Inner Loop Header: Depth=4
	global_load_dwordx4 v[16:19], v[10:11], off glc slc
	s_add_i32 s56, s56, 1
	s_cmpk_lg_i32 s56, 0x2710
	s_cbranch_scc1 .LBB2_126
; %bb.123:                              ;   in Loop: Header=BB2_122 Depth=4
	s_trap 2
	ds_read_b64 v[22:23], v0
	s_waitcnt vmcnt(0) lgkmcnt(0)
	flat_load_dword v1, v[22:23] glc
	s_waitcnt vmcnt(0) lgkmcnt(0)
	buffer_invl2
	buffer_wbinvl1_vol
	v_cmp_ne_u32_e32 vcc, 0, v1
	s_and_saveexec_b64 s[18:19], vcc
	s_cbranch_execz .LBB2_125
; %bb.124:                              ;   in Loop: Header=BB2_122 Depth=4
	v_mov_b32_e32 v24, 1
	ds_write_b32 v0, v1
	s_trap 2
.LBB2_125:                              ;   in Loop: Header=BB2_122 Depth=4
	s_or_b64 exec, exec, s[18:19]
	s_mov_b32 s56, 0
	v_mov_b32_e32 v1, v24
	v_cmp_eq_u32_e32 vcc, 0, v1
	s_mov_b64 s[18:19], -1
	s_and_saveexec_b64 s[54:55], vcc
	s_cbranch_execz .LBB2_121
	s_branch .LBB2_127
.LBB2_126:                              ;   in Loop: Header=BB2_122 Depth=4
	v_mov_b32_e32 v1, 0
	v_cmp_eq_u32_e32 vcc, 0, v1
	s_mov_b64 s[18:19], -1
	s_and_saveexec_b64 s[54:55], vcc
	s_cbranch_execz .LBB2_121
.LBB2_127:                              ;   in Loop: Header=BB2_122 Depth=4
	s_waitcnt vmcnt(0)
	v_cmp_eq_u32_e32 vcc, v8, v17
	v_cmp_eq_u32_e64 s[18:19], v8, v19
	s_and_b64 s[18:19], vcc, s[18:19]
	s_orn2_b64 s[18:19], s[18:19], exec
	s_branch .LBB2_121
.LBB2_128:                              ;   in Loop: Header=BB2_114 Depth=3
	s_or_b64 exec, exec, s[52:53]
.LBB2_129:                              ;   in Loop: Header=BB2_114 Depth=3
	s_or_b64 exec, exec, s[50:51]
.LBB2_130:                              ;   in Loop: Header=BB2_114 Depth=3
	s_or_b64 exec, exec, s[48:49]
	s_waitcnt vmcnt(0)
	v_cmp_ne_u16_sdwa vcc, v16, v41 src0_sel:BYTE_0 src1_sel:DWORD
	v_mov_b32_e32 v1, 0
	v_mov_b32_e32 v10, 0
	s_and_saveexec_b64 s[18:19], vcc
	s_cbranch_execz .LBB2_138
; %bb.131:                              ;   in Loop: Header=BB2_114 Depth=3
	v_cmp_ne_u16_sdwa vcc, sext(v16), s63 src0_sel:BYTE_0 src1_sel:DWORD
	v_bfrev_b32_e32 v10, 1
	s_and_saveexec_b64 s[48:49], vcc
	s_cbranch_execz .LBB2_137
; %bb.132:                              ;   in Loop: Header=BB2_114 Depth=3
	v_and_b32_e32 v10, 0x7c, v16
	v_and_b32_e32 v11, 3, v16
	v_cmp_ne_u32_e32 vcc, s64, v10
                                        ; implicit-def: $vgpr10
	s_and_saveexec_b64 s[50:51], vcc
	s_xor_b64 s[50:51], exec, s[50:51]
	s_cbranch_execz .LBB2_134
; %bb.133:                              ;   in Loop: Header=BB2_114 Depth=3
	v_ffbh_u32_e32 v22, v11
	v_min_u32_e32 v27, 32, v22
	v_bfe_u32 v10, v16, 2, 5
	v_subrev_u32_e32 v22, 29, v27
	v_lshlrev_b64 v[22:23], v22, v[16:17]
	v_sub_u32_e32 v17, 30, v27
	v_cmp_eq_u32_e32 vcc, 0, v10
	v_cndmask_b32_e32 v10, v10, v17, vcc
	v_and_b32_e32 v22, 3, v22
	v_lshlrev_b32_e32 v17, 24, v16
	v_lshl_add_u32 v10, v10, 23, v25
	v_cndmask_b32_e32 v11, v11, v22, vcc
	v_and_or_b32 v10, v17, s65, v10
	v_lshl_or_b32 v10, v11, 21, v10
                                        ; implicit-def: $vgpr11
.LBB2_134:                              ;   in Loop: Header=BB2_114 Depth=3
	s_andn2_saveexec_b64 s[50:51], s[50:51]
; %bb.135:                              ;   in Loop: Header=BB2_114 Depth=3
	v_cmp_gt_i16_sdwa vcc, sext(v16), v30 src0_sel:BYTE_0 src1_sel:DWORD
	v_cndmask_b32_e32 v10, v47, v6, vcc
	v_cmp_eq_u32_e32 vcc, 0, v11
	v_cndmask_b32_e32 v10, v7, v10, vcc
; %bb.136:                              ;   in Loop: Header=BB2_114 Depth=3
	s_or_b64 exec, exec, s[50:51]
.LBB2_137:                              ;   in Loop: Header=BB2_114 Depth=3
	s_or_b64 exec, exec, s[48:49]
.LBB2_138:                              ;   in Loop: Header=BB2_114 Depth=3
	s_or_b64 exec, exec, s[18:19]
	v_lshlrev_b32_e32 v27, 3, v44
	v_alignbit_b32 v40, v26, v2, v27
	v_cmp_ne_u16_sdwa vcc, v40, v41 src0_sel:BYTE_0 src1_sel:DWORD
	s_and_saveexec_b64 s[18:19], vcc
	s_cbranch_execz .LBB2_146
; %bb.139:                              ;   in Loop: Header=BB2_114 Depth=3
	v_cmp_ne_u16_sdwa vcc, sext(v40), s63 src0_sel:BYTE_0 src1_sel:DWORD
	v_bfrev_b32_e32 v1, 1
	s_and_saveexec_b64 s[48:49], vcc
	s_cbranch_execz .LBB2_145
; %bb.140:                              ;   in Loop: Header=BB2_114 Depth=3
	v_and_b32_e32 v1, 0x7c, v40
	v_and_b32_e32 v2, 3, v40
	v_cmp_ne_u32_e32 vcc, s64, v1
                                        ; implicit-def: $vgpr1
	s_and_saveexec_b64 s[50:51], vcc
	s_xor_b64 s[50:51], exec, s[50:51]
	s_cbranch_execz .LBB2_142
; %bb.141:                              ;   in Loop: Header=BB2_114 Depth=3
	v_ffbh_u32_e32 v11, v2
	v_bfe_u32 v1, v40, 2, 5
	v_min_u32_e32 v11, 32, v11
	v_subrev_u32_e32 v17, 29, v11
	v_sub_u32_e32 v11, 30, v11
	v_cmp_eq_u32_e32 vcc, 0, v1
	v_lshlrev_b64 v[22:23], v17, v[40:41]
	v_cndmask_b32_e32 v1, v1, v11, vcc
	v_and_b32_e32 v17, 3, v22
	v_lshlrev_b32_e32 v11, 24, v40
	v_lshl_add_u32 v1, v1, 23, v25
	v_cndmask_b32_e32 v2, v2, v17, vcc
	v_and_or_b32 v1, v11, s65, v1
	v_lshl_or_b32 v1, v2, 21, v1
                                        ; implicit-def: $vgpr2
.LBB2_142:                              ;   in Loop: Header=BB2_114 Depth=3
	s_andn2_saveexec_b64 s[50:51], s[50:51]
; %bb.143:                              ;   in Loop: Header=BB2_114 Depth=3
	v_cmp_gt_i16_sdwa vcc, sext(v40), v30 src0_sel:BYTE_0 src1_sel:DWORD
	v_cndmask_b32_e32 v1, v47, v6, vcc
	v_cmp_eq_u32_e32 vcc, 0, v2
	v_cndmask_b32_e32 v1, v7, v1, vcc
; %bb.144:                              ;   in Loop: Header=BB2_114 Depth=3
	s_or_b64 exec, exec, s[50:51]
.LBB2_145:                              ;   in Loop: Header=BB2_114 Depth=3
	s_or_b64 exec, exec, s[48:49]
.LBB2_146:                              ;   in Loop: Header=BB2_114 Depth=3
	s_or_b64 exec, exec, s[18:19]
	v_mul_f32_e32 v17, v10, v1
	v_and_b32_sdwa v2, v17, s66 dst_sel:DWORD dst_unused:UNUSED_PAD src0_sel:BYTE_3 src1_sel:DWORD
	v_and_b32_e32 v22, 0x7f800000, v17
	v_mov_b32_e32 v23, v41
	v_and_b32_e32 v10, 0x7fffff, v17
	v_mov_b32_e32 v11, v41
	v_or_b32_e32 v1, 0x7b, v2
	v_cmp_ne_u64_e32 vcc, s[38:39], v[22:23]
	s_and_saveexec_b64 s[18:19], vcc
	s_xor_b64 s[48:49], exec, s[18:19]
	s_cbranch_execz .LBB2_156
; %bb.147:                              ;   in Loop: Header=BB2_114 Depth=3
	v_and_b32_e32 v22, 0x7fffffff, v17
	v_mov_b32_e32 v23, v41
	v_cmp_gt_u64_e32 vcc, s[40:41], v[22:23]
	s_and_saveexec_b64 s[50:51], vcc
	s_cbranch_execz .LBB2_155
; %bb.148:                              ;   in Loop: Header=BB2_114 Depth=3
	v_cmp_ne_u32_e32 vcc, 0, v17
	v_mov_b32_e32 v1, 0
	s_and_saveexec_b64 s[52:53], vcc
	s_cbranch_execz .LBB2_154
; %bb.149:                              ;   in Loop: Header=BB2_114 Depth=3
	v_bfe_u32 v1, v17, 23, 8
	v_sub_u32_e32 v22, 0x71, v1
	v_cmp_gt_u32_e32 vcc, s67, v1
	v_add_u32_e32 v17, 0xffffff81, v1
	v_cndmask_b32_e32 v22, 0, v22, vcc
	v_cmp_eq_u32_e32 vcc, 0, v1
	v_cndmask_b32_e32 v1, v17, v54, vcc
	v_cndmask_b32_e32 v17, v22, v55, vcc
	v_or_b32_e32 v23, 0x800000, v10
	v_add_u32_e32 v22, 21, v17
	v_cndmask_b32_e32 v10, v23, v10, vcc
	v_lshlrev_b64 v[22:23], v22, -1
	v_not_b32_e32 v22, v22
	v_and_b32_e32 v36, v10, v22
	v_add_u32_e32 v22, 20, v17
	v_lshrrev_b64 v[10:11], v17, v[10:11]
	v_not_b32_e32 v23, v23
	v_lshlrev_b64 v[50:51], v22, 1
	v_lshrrev_b32_e32 v22, 23, v10
	v_and_b32_e32 v37, 0, v23
	v_add3_u32 v22, v17, v1, v22
	v_bfe_u32 v1, v10, 21, 1
	v_add_u32_e32 v1, -1, v1
	v_cmp_eq_u64_e32 vcc, v[36:37], v[50:51]
	v_cndmask_b32_e32 v1, 0, v1, vcc
	v_add_u32_e32 v1, v1, v10
	v_and_b32_e32 v1, 0x1fffff, v1
	v_add_co_u32_e32 v10, vcc, v1, v10
	v_add_u32_e32 v17, 14, v22
	v_addc_co_u32_e32 v11, vcc, 0, v11, vcc
	v_cmp_ne_u32_e32 vcc, 0, v17
                                        ; implicit-def: $vgpr1
	s_and_saveexec_b64 s[18:19], vcc
	s_xor_b64 s[18:19], exec, s[18:19]
; %bb.150:                              ;   in Loop: Header=BB2_114 Depth=3
	v_add_u32_e32 v1, 15, v22
	v_cmp_lt_u64_e32 vcc, s[42:43], v[10:11]
	v_cndmask_b32_e32 v1, v17, v1, vcc
	v_cndmask_b32_e64 v17, 0, 1, vcc
	v_lshrrev_b64 v[10:11], v17, v[10:11]
; %bb.151:                              ;   in Loop: Header=BB2_114 Depth=3
	s_andn2_saveexec_b64 s[18:19], s[18:19]
; %bb.152:                              ;   in Loop: Header=BB2_114 Depth=3
	v_bfe_u32 v1, v10, 23, 1
; %bb.153:                              ;   in Loop: Header=BB2_114 Depth=3
	s_or_b64 exec, exec, s[18:19]
	v_lshrrev_b64 v[10:11], 21, v[10:11]
	v_cmp_gt_i32_e32 vcc, 32, v1
	v_cndmask_b32_e32 v11, 0, v11, vcc
	v_cndmask_b32_e32 v10, 3, v10, vcc
	v_cmp_eq_u32_e32 vcc, 0, v1
	v_min_i32_e32 v1, 31, v1
	v_cmp_eq_u64_e64 s[18:19], 0, v[10:11]
	v_lshlrev_b32_e32 v1, 2, v1
	v_and_or_b32 v1, v10, 3, v1
	s_and_b64 s[18:19], vcc, s[18:19]
	v_cndmask_b32_e64 v1, v1, 0, s[18:19]
	v_or_b32_e32 v1, v1, v2
.LBB2_154:                              ;   in Loop: Header=BB2_114 Depth=3
	s_or_b64 exec, exec, s[52:53]
.LBB2_155:                              ;   in Loop: Header=BB2_114 Depth=3
	s_or_b64 exec, exec, s[50:51]
                                        ; implicit-def: $vgpr17
                                        ; implicit-def: $vgpr10_vgpr11
.LBB2_156:                              ;   in Loop: Header=BB2_114 Depth=3
	s_andn2_saveexec_b64 s[18:19], s[48:49]
; %bb.157:                              ;   in Loop: Header=BB2_114 Depth=3
	v_or_b32_sdwa v2, v17, s68 dst_sel:DWORD dst_unused:UNUSED_PAD src0_sel:BYTE_3 src1_sel:DWORD
	v_cmp_eq_u64_e32 vcc, 0, v[10:11]
	v_cndmask_b32_e32 v1, v2, v1, vcc
; %bb.158:                              ;   in Loop: Header=BB2_114 Depth=3
	s_or_b64 exec, exec, s[18:19]
	v_lshrrev_b16_e32 v10, 8, v16
	v_cmp_ne_u16_e32 vcc, 0, v10
	v_mov_b32_e32 v2, 0
	v_mov_b32_e32 v17, 0
	s_and_saveexec_b64 s[18:19], vcc
	s_cbranch_execz .LBB2_166
; %bb.159:                              ;   in Loop: Header=BB2_114 Depth=3
	v_cmp_ne_u16_e32 vcc, s66, v10
	v_bfrev_b32_e32 v17, 1
	s_and_saveexec_b64 s[48:49], vcc
	s_cbranch_execz .LBB2_165
; %bb.160:                              ;   in Loop: Header=BB2_114 Depth=3
	v_and_b32_e32 v11, 0x7c, v10
	v_and_b32_e32 v22, 3, v10
	v_cmp_ne_u32_e32 vcc, s64, v11
                                        ; implicit-def: $vgpr17
	s_and_saveexec_b64 s[50:51], vcc
	s_xor_b64 s[50:51], exec, s[50:51]
	s_cbranch_execz .LBB2_162
; %bb.161:                              ;   in Loop: Header=BB2_114 Depth=3
	v_ffbh_u32_e32 v23, v22
	v_min_u32_e32 v23, 32, v23
	v_mov_b32_e32 v11, v41
	v_subrev_u32_e32 v36, 29, v23
	v_bfe_u32 v17, v10, 2, 5
	v_lshlrev_b64 v[10:11], v36, v[10:11]
	v_sub_u32_e32 v11, 30, v23
	v_cmp_eq_u32_e32 vcc, 0, v17
	v_cndmask_b32_e32 v11, v17, v11, vcc
	v_and_b32_e32 v10, 3, v10
	v_lshlrev_b32_e32 v17, 16, v16
	v_lshl_add_u32 v11, v11, 23, v25
	v_cndmask_b32_e32 v10, v22, v10, vcc
	v_and_or_b32 v11, v17, s65, v11
	v_lshl_or_b32 v17, v10, 21, v11
                                        ; implicit-def: $vgpr22
.LBB2_162:                              ;   in Loop: Header=BB2_114 Depth=3
	s_andn2_saveexec_b64 s[50:51], s[50:51]
; %bb.163:                              ;   in Loop: Header=BB2_114 Depth=3
	v_cmp_lt_i16_e32 vcc, -1, v16
	v_cndmask_b32_e32 v10, v47, v6, vcc
	v_cmp_eq_u32_e32 vcc, 0, v22
	v_cndmask_b32_e32 v17, v7, v10, vcc
; %bb.164:                              ;   in Loop: Header=BB2_114 Depth=3
	s_or_b64 exec, exec, s[50:51]
.LBB2_165:                              ;   in Loop: Header=BB2_114 Depth=3
	s_or_b64 exec, exec, s[48:49]
.LBB2_166:                              ;   in Loop: Header=BB2_114 Depth=3
	s_or_b64 exec, exec, s[18:19]
	v_lshrrev_b16_e32 v10, 8, v40
	v_cmp_ne_u16_e32 vcc, 0, v10
	s_and_saveexec_b64 s[18:19], vcc
	s_cbranch_execz .LBB2_174
; %bb.167:                              ;   in Loop: Header=BB2_114 Depth=3
	v_cmp_ne_u16_e32 vcc, s66, v10
	v_bfrev_b32_e32 v2, 1
	s_and_saveexec_b64 s[48:49], vcc
	s_cbranch_execz .LBB2_173
; %bb.168:                              ;   in Loop: Header=BB2_114 Depth=3
	v_and_b32_e32 v2, 0x7c, v10
	v_and_b32_e32 v22, 3, v10
	v_cmp_ne_u32_e32 vcc, s64, v2
                                        ; implicit-def: $vgpr2
	s_and_saveexec_b64 s[50:51], vcc
	s_xor_b64 s[50:51], exec, s[50:51]
	s_cbranch_execz .LBB2_170
; %bb.169:                              ;   in Loop: Header=BB2_114 Depth=3
	v_ffbh_u32_e32 v23, v22
	v_min_u32_e32 v23, 32, v23
	v_mov_b32_e32 v11, v41
	v_subrev_u32_e32 v36, 29, v23
	v_bfe_u32 v2, v10, 2, 5
	v_lshlrev_b64 v[10:11], v36, v[10:11]
	v_sub_u32_e32 v11, 30, v23
	v_cmp_eq_u32_e32 vcc, 0, v2
	v_cndmask_b32_e32 v2, v2, v11, vcc
	v_and_b32_e32 v10, 3, v10
	v_lshlrev_b32_e32 v11, 16, v40
	v_lshl_add_u32 v2, v2, 23, v25
	v_cndmask_b32_e32 v10, v22, v10, vcc
	v_and_or_b32 v2, v11, s65, v2
	v_lshl_or_b32 v2, v10, 21, v2
                                        ; implicit-def: $vgpr22
.LBB2_170:                              ;   in Loop: Header=BB2_114 Depth=3
	s_andn2_saveexec_b64 s[50:51], s[50:51]
; %bb.171:                              ;   in Loop: Header=BB2_114 Depth=3
	v_cmp_lt_i16_e32 vcc, -1, v40
	v_cndmask_b32_e32 v2, v47, v6, vcc
	v_cmp_eq_u32_e32 vcc, 0, v22
	v_cndmask_b32_e32 v2, v7, v2, vcc
; %bb.172:                              ;   in Loop: Header=BB2_114 Depth=3
	s_or_b64 exec, exec, s[50:51]
.LBB2_173:                              ;   in Loop: Header=BB2_114 Depth=3
	s_or_b64 exec, exec, s[48:49]
.LBB2_174:                              ;   in Loop: Header=BB2_114 Depth=3
	s_or_b64 exec, exec, s[18:19]
	v_mul_f32_e32 v46, v17, v2
	v_and_b32_sdwa v2, v46, s66 dst_sel:DWORD dst_unused:UNUSED_PAD src0_sel:BYTE_3 src1_sel:DWORD
	v_and_b32_e32 v22, 0x7f800000, v46
	v_mov_b32_e32 v23, v41
	v_and_b32_e32 v10, 0x7fffff, v46
	v_mov_b32_e32 v11, v41
	v_or_b32_e32 v17, 0x7b, v2
	v_cmp_ne_u64_e32 vcc, s[38:39], v[22:23]
	s_and_saveexec_b64 s[18:19], vcc
	s_xor_b64 s[48:49], exec, s[18:19]
	s_cbranch_execz .LBB2_184
; %bb.175:                              ;   in Loop: Header=BB2_114 Depth=3
	v_and_b32_e32 v22, 0x7fffffff, v46
	v_mov_b32_e32 v23, v41
	v_cmp_gt_u64_e32 vcc, s[40:41], v[22:23]
	s_and_saveexec_b64 s[50:51], vcc
	s_cbranch_execz .LBB2_183
; %bb.176:                              ;   in Loop: Header=BB2_114 Depth=3
	v_cmp_ne_u32_e32 vcc, 0, v46
	v_mov_b32_e32 v17, 0
	s_and_saveexec_b64 s[52:53], vcc
	s_cbranch_execz .LBB2_182
; %bb.177:                              ;   in Loop: Header=BB2_114 Depth=3
	v_bfe_u32 v17, v46, 23, 8
	v_sub_u32_e32 v23, 0x71, v17
	v_cmp_gt_u32_e32 vcc, s67, v17
	v_cndmask_b32_e32 v23, 0, v23, vcc
	v_cmp_eq_u32_e32 vcc, 0, v17
	v_add_u32_e32 v22, 0xffffff81, v17
	v_cndmask_b32_e32 v46, v23, v55, vcc
	v_cndmask_b32_e32 v17, v22, v54, vcc
	v_add_u32_e32 v22, 21, v46
	v_or_b32_e32 v36, 0x800000, v10
	v_lshlrev_b64 v[22:23], v22, -1
	v_cndmask_b32_e32 v10, v36, v10, vcc
	v_not_b32_e32 v22, v22
	v_and_b32_e32 v36, v10, v22
	v_add_u32_e32 v22, 20, v46
	v_lshrrev_b64 v[10:11], v46, v[10:11]
	v_not_b32_e32 v23, v23
	v_lshlrev_b64 v[50:51], v22, 1
	v_lshrrev_b32_e32 v22, 23, v10
	v_and_b32_e32 v37, 0, v23
	v_add3_u32 v23, v46, v17, v22
	v_bfe_u32 v17, v10, 21, 1
	v_add_u32_e32 v17, -1, v17
	v_cmp_eq_u64_e32 vcc, v[36:37], v[50:51]
	v_cndmask_b32_e32 v17, 0, v17, vcc
	v_add_u32_e32 v17, v17, v10
	v_and_b32_e32 v17, 0x1fffff, v17
	v_add_co_u32_e32 v10, vcc, v17, v10
	v_add_u32_e32 v22, 14, v23
	v_addc_co_u32_e32 v11, vcc, 0, v11, vcc
	v_cmp_ne_u32_e32 vcc, 0, v22
                                        ; implicit-def: $vgpr17
	s_and_saveexec_b64 s[18:19], vcc
	s_xor_b64 s[18:19], exec, s[18:19]
; %bb.178:                              ;   in Loop: Header=BB2_114 Depth=3
	v_add_u32_e32 v17, 15, v23
	v_cmp_lt_u64_e32 vcc, s[42:43], v[10:11]
	v_cndmask_b32_e32 v17, v22, v17, vcc
	v_cndmask_b32_e64 v22, 0, 1, vcc
	v_lshrrev_b64 v[10:11], v22, v[10:11]
; %bb.179:                              ;   in Loop: Header=BB2_114 Depth=3
	s_andn2_saveexec_b64 s[18:19], s[18:19]
; %bb.180:                              ;   in Loop: Header=BB2_114 Depth=3
	v_bfe_u32 v17, v10, 23, 1
; %bb.181:                              ;   in Loop: Header=BB2_114 Depth=3
	s_or_b64 exec, exec, s[18:19]
	v_lshrrev_b64 v[10:11], 21, v[10:11]
	v_cmp_gt_i32_e32 vcc, 32, v17
	v_cndmask_b32_e32 v11, 0, v11, vcc
	v_cndmask_b32_e32 v10, 3, v10, vcc
	v_cmp_eq_u64_e64 s[18:19], 0, v[10:11]
	v_min_i32_e32 v11, 31, v17
	v_cmp_eq_u32_e32 vcc, 0, v17
	v_lshlrev_b32_e32 v11, 2, v11
	v_and_or_b32 v10, v10, 3, v11
	s_and_b64 s[18:19], vcc, s[18:19]
	v_cndmask_b32_e64 v10, v10, 0, s[18:19]
	v_or_b32_e32 v17, v10, v2
.LBB2_182:                              ;   in Loop: Header=BB2_114 Depth=3
	s_or_b64 exec, exec, s[52:53]
.LBB2_183:                              ;   in Loop: Header=BB2_114 Depth=3
	s_or_b64 exec, exec, s[50:51]
                                        ; implicit-def: $vgpr46
                                        ; implicit-def: $vgpr10_vgpr11
.LBB2_184:                              ;   in Loop: Header=BB2_114 Depth=3
	s_andn2_saveexec_b64 s[18:19], s[48:49]
; %bb.185:                              ;   in Loop: Header=BB2_114 Depth=3
	v_or_b32_sdwa v2, v46, s68 dst_sel:DWORD dst_unused:UNUSED_PAD src0_sel:BYTE_3 src1_sel:DWORD
	v_cmp_eq_u64_e32 vcc, 0, v[10:11]
	v_cndmask_b32_e32 v17, v2, v17, vcc
; %bb.186:                              ;   in Loop: Header=BB2_114 Depth=3
	s_or_b64 exec, exec, s[18:19]
	v_lshrrev_b32_e32 v2, 16, v16
	v_cmp_ne_u16_sdwa vcc, v2, v41 src0_sel:BYTE_0 src1_sel:DWORD
	v_mov_b32_e32 v11, 0
	v_mov_b32_e32 v10, 0
	s_and_saveexec_b64 s[18:19], vcc
	s_cbranch_execz .LBB2_194
; %bb.187:                              ;   in Loop: Header=BB2_114 Depth=3
	v_cmp_ne_u16_sdwa vcc, v2, s66 src0_sel:BYTE_0 src1_sel:DWORD
	v_bfrev_b32_e32 v10, 1
	s_and_saveexec_b64 s[48:49], vcc
	s_cbranch_execz .LBB2_193
; %bb.188:                              ;   in Loop: Header=BB2_114 Depth=3
	v_and_b32_e32 v10, 0x7c0000, v16
	v_bfe_u32 v46, v16, 16, 2
	v_cmp_ne_u32_e32 vcc, s69, v10
                                        ; implicit-def: $vgpr10
	s_and_saveexec_b64 s[50:51], vcc
	s_xor_b64 s[50:51], exec, s[50:51]
	s_cbranch_execz .LBB2_190
; %bb.189:                              ;   in Loop: Header=BB2_114 Depth=3
	v_ffbh_u32_e32 v22, v46
	v_min_u32_e32 v36, 32, v22
	v_bfe_u32 v10, v16, 18, 5
	v_subrev_u32_e32 v22, 29, v36
	v_lshlrev_b64 v[22:23], v22, v[2:3]
	v_sub_u32_e32 v2, 30, v36
	v_cmp_eq_u32_e32 vcc, 0, v10
	v_and_b32_e32 v22, 3, v22
	v_cndmask_b32_e32 v2, v10, v2, vcc
	v_cndmask_b32_e32 v10, v46, v22, vcc
	v_lshlrev_b32_e32 v22, 8, v16
	v_lshl_add_u32 v2, v2, 23, v25
	v_and_or_b32 v2, v22, s65, v2
	v_lshl_or_b32 v10, v10, 21, v2
                                        ; implicit-def: $vgpr46
                                        ; implicit-def: $vgpr2
.LBB2_190:                              ;   in Loop: Header=BB2_114 Depth=3
	s_andn2_saveexec_b64 s[50:51], s[50:51]
; %bb.191:                              ;   in Loop: Header=BB2_114 Depth=3
	v_cmp_gt_i16_sdwa vcc, sext(v2), v30 src0_sel:BYTE_0 src1_sel:DWORD
	v_cndmask_b32_e32 v2, v47, v6, vcc
	v_cmp_eq_u32_e32 vcc, 0, v46
	v_cndmask_b32_e32 v10, v7, v2, vcc
; %bb.192:                              ;   in Loop: Header=BB2_114 Depth=3
	s_or_b64 exec, exec, s[50:51]
.LBB2_193:                              ;   in Loop: Header=BB2_114 Depth=3
	s_or_b64 exec, exec, s[48:49]
.LBB2_194:                              ;   in Loop: Header=BB2_114 Depth=3
	s_or_b64 exec, exec, s[18:19]
	v_and_b32_sdwa v22, v40, s62 dst_sel:DWORD dst_unused:UNUSED_PAD src0_sel:WORD_1 src1_sel:DWORD
	v_lshrrev_b32_e32 v2, 16, v40
	v_cmp_ne_u16_e32 vcc, 0, v22
	s_and_saveexec_b64 s[18:19], vcc
	s_cbranch_execz .LBB2_202
; %bb.195:                              ;   in Loop: Header=BB2_114 Depth=3
	v_cmp_ne_u16_e32 vcc, s66, v22
	v_bfrev_b32_e32 v11, 1
	s_and_saveexec_b64 s[48:49], vcc
	s_cbranch_execz .LBB2_201
; %bb.196:                              ;   in Loop: Header=BB2_114 Depth=3
	v_and_b32_e32 v11, 0x7c0000, v40
	v_bfe_u32 v46, v40, 16, 2
	v_cmp_ne_u32_e32 vcc, s69, v11
                                        ; implicit-def: $vgpr11
	s_and_saveexec_b64 s[50:51], vcc
	s_xor_b64 s[50:51], exec, s[50:51]
	s_cbranch_execz .LBB2_198
; %bb.197:                              ;   in Loop: Header=BB2_114 Depth=3
	v_ffbh_u32_e32 v22, v46
	v_min_u32_e32 v36, 32, v22
	v_lshrrev_b32_e32 v2, 16, v40
	v_bfe_u32 v11, v40, 18, 5
	v_subrev_u32_e32 v22, 29, v36
	v_lshlrev_b64 v[22:23], v22, v[2:3]
	v_sub_u32_e32 v2, 30, v36
	v_cmp_eq_u32_e32 vcc, 0, v11
	v_and_b32_e32 v22, 3, v22
	v_cndmask_b32_e32 v2, v11, v2, vcc
	v_cndmask_b32_e32 v11, v46, v22, vcc
	v_lshlrev_b32_e32 v22, 8, v40
	v_lshl_add_u32 v2, v2, 23, v25
	v_and_or_b32 v2, v22, s65, v2
	v_lshl_or_b32 v11, v11, 21, v2
                                        ; implicit-def: $vgpr46
                                        ; implicit-def: $vgpr2
.LBB2_198:                              ;   in Loop: Header=BB2_114 Depth=3
	s_andn2_saveexec_b64 s[50:51], s[50:51]
; %bb.199:                              ;   in Loop: Header=BB2_114 Depth=3
	v_cmp_gt_i16_sdwa vcc, sext(v2), v30 src0_sel:BYTE_0 src1_sel:DWORD
	v_cndmask_b32_e32 v2, v47, v6, vcc
	v_cmp_eq_u32_e32 vcc, 0, v46
	v_cndmask_b32_e32 v11, v7, v2, vcc
; %bb.200:                              ;   in Loop: Header=BB2_114 Depth=3
	s_or_b64 exec, exec, s[50:51]
.LBB2_201:                              ;   in Loop: Header=BB2_114 Depth=3
	s_or_b64 exec, exec, s[48:49]
.LBB2_202:                              ;   in Loop: Header=BB2_114 Depth=3
	s_or_b64 exec, exec, s[18:19]
	v_mul_f32_e32 v46, v10, v11
	v_and_b32_sdwa v2, v46, s66 dst_sel:DWORD dst_unused:UNUSED_PAD src0_sel:BYTE_3 src1_sel:DWORD
	v_and_b32_e32 v22, 0x7f800000, v46
	v_mov_b32_e32 v23, v41
	v_and_b32_e32 v10, 0x7fffff, v46
	v_mov_b32_e32 v11, v41
	v_or_b32_e32 v61, 0x7b, v2
	v_cmp_ne_u64_e32 vcc, s[38:39], v[22:23]
	s_and_saveexec_b64 s[18:19], vcc
	s_xor_b64 s[48:49], exec, s[18:19]
	s_cbranch_execz .LBB2_212
; %bb.203:                              ;   in Loop: Header=BB2_114 Depth=3
	v_and_b32_e32 v22, 0x7fffffff, v46
	v_mov_b32_e32 v23, v41
	v_cmp_gt_u64_e32 vcc, s[40:41], v[22:23]
	s_and_saveexec_b64 s[50:51], vcc
	s_cbranch_execz .LBB2_211
; %bb.204:                              ;   in Loop: Header=BB2_114 Depth=3
	v_cmp_ne_u32_e32 vcc, 0, v46
	v_mov_b32_e32 v61, 0
	s_and_saveexec_b64 s[52:53], vcc
	s_cbranch_execz .LBB2_210
; %bb.205:                              ;   in Loop: Header=BB2_114 Depth=3
	v_bfe_u32 v22, v46, 23, 8
	v_sub_u32_e32 v36, 0x71, v22
	v_cmp_gt_u32_e32 vcc, s67, v22
	v_cndmask_b32_e32 v36, 0, v36, vcc
	v_cmp_eq_u32_e32 vcc, 0, v22
	v_cndmask_b32_e32 v61, v36, v55, vcc
	v_add_u32_e32 v23, 0xffffff81, v22
	v_add_u32_e32 v22, 21, v61
	v_or_b32_e32 v37, 0x800000, v10
	v_cndmask_b32_e32 v46, v23, v54, vcc
	v_lshlrev_b64 v[22:23], v22, -1
	v_cndmask_b32_e32 v10, v37, v10, vcc
	v_not_b32_e32 v22, v22
	v_and_b32_e32 v36, v10, v22
	v_add_u32_e32 v22, 20, v61
	v_lshrrev_b64 v[10:11], v61, v[10:11]
	v_not_b32_e32 v23, v23
	v_lshlrev_b64 v[50:51], v22, 1
	v_lshrrev_b32_e32 v22, 23, v10
	v_and_b32_e32 v37, 0, v23
	v_add3_u32 v23, v61, v46, v22
	v_bfe_u32 v46, v10, 21, 1
	v_add_u32_e32 v46, -1, v46
	v_cmp_eq_u64_e32 vcc, v[36:37], v[50:51]
	v_cndmask_b32_e32 v36, 0, v46, vcc
	v_add_u32_e32 v36, v36, v10
	v_and_b32_e32 v36, 0x1fffff, v36
	v_add_co_u32_e32 v10, vcc, v36, v10
	v_add_u32_e32 v22, 14, v23
	v_addc_co_u32_e32 v11, vcc, 0, v11, vcc
	v_cmp_ne_u32_e32 vcc, 0, v22
                                        ; implicit-def: $vgpr46
	s_and_saveexec_b64 s[18:19], vcc
	s_xor_b64 s[18:19], exec, s[18:19]
; %bb.206:                              ;   in Loop: Header=BB2_114 Depth=3
	v_add_u32_e32 v23, 15, v23
	v_cmp_lt_u64_e32 vcc, s[42:43], v[10:11]
	v_cndmask_b32_e32 v46, v22, v23, vcc
	v_cndmask_b32_e64 v22, 0, 1, vcc
	v_lshrrev_b64 v[10:11], v22, v[10:11]
; %bb.207:                              ;   in Loop: Header=BB2_114 Depth=3
	s_andn2_saveexec_b64 s[18:19], s[18:19]
; %bb.208:                              ;   in Loop: Header=BB2_114 Depth=3
	v_bfe_u32 v46, v10, 23, 1
; %bb.209:                              ;   in Loop: Header=BB2_114 Depth=3
	s_or_b64 exec, exec, s[18:19]
	v_lshrrev_b64 v[10:11], 21, v[10:11]
	v_cmp_gt_i32_e32 vcc, 32, v46
	v_cndmask_b32_e32 v11, 0, v11, vcc
	v_cndmask_b32_e32 v10, 3, v10, vcc
	v_cmp_eq_u64_e64 s[18:19], 0, v[10:11]
	v_min_i32_e32 v11, 31, v46
	v_cmp_eq_u32_e32 vcc, 0, v46
	v_lshlrev_b32_e32 v11, 2, v11
	v_and_or_b32 v10, v10, 3, v11
	s_and_b64 s[18:19], vcc, s[18:19]
	v_cndmask_b32_e64 v10, v10, 0, s[18:19]
	v_or_b32_e32 v61, v10, v2
.LBB2_210:                              ;   in Loop: Header=BB2_114 Depth=3
	s_or_b64 exec, exec, s[52:53]
.LBB2_211:                              ;   in Loop: Header=BB2_114 Depth=3
	s_or_b64 exec, exec, s[50:51]
                                        ; implicit-def: $vgpr46
                                        ; implicit-def: $vgpr10_vgpr11
.LBB2_212:                              ;   in Loop: Header=BB2_114 Depth=3
	s_andn2_saveexec_b64 s[18:19], s[48:49]
; %bb.213:                              ;   in Loop: Header=BB2_114 Depth=3
	v_or_b32_sdwa v2, v46, s68 dst_sel:DWORD dst_unused:UNUSED_PAD src0_sel:BYTE_3 src1_sel:DWORD
	v_cmp_eq_u64_e32 vcc, 0, v[10:11]
	v_cndmask_b32_e32 v61, v2, v61, vcc
; %bb.214:                              ;   in Loop: Header=BB2_114 Depth=3
	s_or_b64 exec, exec, s[18:19]
	v_cmp_lt_u32_e32 vcc, s37, v16
	v_mov_b32_e32 v10, 0
	v_mov_b32_e32 v11, 0
	s_and_saveexec_b64 s[18:19], vcc
	s_cbranch_execz .LBB2_222
; %bb.215:                              ;   in Loop: Header=BB2_114 Depth=3
	v_lshrrev_b32_e32 v2, 24, v16
	v_cmp_ne_u32_e32 vcc, s66, v2
	v_bfrev_b32_e32 v11, 1
	s_and_saveexec_b64 s[48:49], vcc
	s_cbranch_execz .LBB2_221
; %bb.216:                              ;   in Loop: Header=BB2_114 Depth=3
	v_and_b32_e32 v11, 0x7c000000, v16
	v_bfe_u32 v46, v16, 24, 2
	v_cmp_ne_u32_e32 vcc, s70, v11
                                        ; implicit-def: $vgpr11
	s_and_saveexec_b64 s[50:51], vcc
	s_xor_b64 s[50:51], exec, s[50:51]
	s_cbranch_execz .LBB2_218
; %bb.217:                              ;   in Loop: Header=BB2_114 Depth=3
	v_ffbh_u32_e32 v22, v46
	v_min_u32_e32 v36, 32, v22
	v_bfe_u32 v11, v16, 26, 5
	v_subrev_u32_e32 v22, 29, v36
	v_lshlrev_b64 v[22:23], v22, v[2:3]
	v_sub_u32_e32 v2, 30, v36
	v_cmp_eq_u32_e32 vcc, 0, v11
	v_cndmask_b32_e32 v2, v11, v2, vcc
	v_and_b32_e32 v22, 3, v22
	v_lshl_add_u32 v2, v2, 23, v25
	v_cndmask_b32_e32 v11, v46, v22, vcc
	v_and_or_b32 v2, v16, s65, v2
	v_lshl_or_b32 v11, v11, 21, v2
                                        ; implicit-def: $vgpr46
.LBB2_218:                              ;   in Loop: Header=BB2_114 Depth=3
	s_andn2_saveexec_b64 s[50:51], s[50:51]
; %bb.219:                              ;   in Loop: Header=BB2_114 Depth=3
	v_cmp_lt_i32_e32 vcc, -1, v16
	v_cndmask_b32_e32 v2, v47, v6, vcc
	v_cmp_eq_u32_e32 vcc, 0, v46
	v_cndmask_b32_e32 v11, v7, v2, vcc
; %bb.220:                              ;   in Loop: Header=BB2_114 Depth=3
	s_or_b64 exec, exec, s[50:51]
.LBB2_221:                              ;   in Loop: Header=BB2_114 Depth=3
	s_or_b64 exec, exec, s[48:49]
.LBB2_222:                              ;   in Loop: Header=BB2_114 Depth=3
	s_or_b64 exec, exec, s[18:19]
	v_cmp_lt_u32_e32 vcc, s37, v40
	s_and_saveexec_b64 s[18:19], vcc
	s_cbranch_execz .LBB2_230
; %bb.223:                              ;   in Loop: Header=BB2_114 Depth=3
	v_lshrrev_b32_e32 v2, 24, v40
	v_cmp_ne_u32_e32 vcc, s66, v2
	v_bfrev_b32_e32 v10, 1
	s_and_saveexec_b64 s[48:49], vcc
	s_cbranch_execz .LBB2_229
; %bb.224:                              ;   in Loop: Header=BB2_114 Depth=3
	v_and_b32_e32 v10, 0x7c000000, v40
	v_bfe_u32 v16, v40, 24, 2
	v_cmp_ne_u32_e32 vcc, s70, v10
                                        ; implicit-def: $vgpr10
	s_and_saveexec_b64 s[50:51], vcc
	s_xor_b64 s[50:51], exec, s[50:51]
	s_cbranch_execz .LBB2_226
; %bb.225:                              ;   in Loop: Header=BB2_114 Depth=3
	v_ffbh_u32_e32 v22, v16
	v_min_u32_e32 v36, 32, v22
	v_bfe_u32 v10, v40, 26, 5
	v_subrev_u32_e32 v22, 29, v36
	v_lshlrev_b64 v[22:23], v22, v[2:3]
	v_sub_u32_e32 v2, 30, v36
	v_cmp_eq_u32_e32 vcc, 0, v10
	v_cndmask_b32_e32 v2, v10, v2, vcc
	v_and_b32_e32 v22, 3, v22
	v_lshl_add_u32 v2, v2, 23, v25
	v_cndmask_b32_e32 v10, v16, v22, vcc
	v_and_or_b32 v2, v40, s65, v2
	v_lshl_or_b32 v10, v10, 21, v2
                                        ; implicit-def: $vgpr16
.LBB2_226:                              ;   in Loop: Header=BB2_114 Depth=3
	s_andn2_saveexec_b64 s[50:51], s[50:51]
; %bb.227:                              ;   in Loop: Header=BB2_114 Depth=3
	v_cmp_lt_i32_e32 vcc, -1, v40
	v_cndmask_b32_e32 v2, v47, v6, vcc
	v_cmp_eq_u32_e32 vcc, 0, v16
	v_cndmask_b32_e32 v10, v7, v2, vcc
; %bb.228:                              ;   in Loop: Header=BB2_114 Depth=3
	s_or_b64 exec, exec, s[50:51]
.LBB2_229:                              ;   in Loop: Header=BB2_114 Depth=3
	s_or_b64 exec, exec, s[48:49]
.LBB2_230:                              ;   in Loop: Header=BB2_114 Depth=3
	s_or_b64 exec, exec, s[18:19]
	v_mul_f32_e32 v10, v11, v10
	v_and_b32_sdwa v2, v10, s66 dst_sel:DWORD dst_unused:UNUSED_PAD src0_sel:BYTE_3 src1_sel:DWORD
	v_and_b32_e32 v22, 0x7f800000, v10
	v_mov_b32_e32 v23, v41
	v_and_b32_e32 v40, 0x7fffff, v10
	v_or_b32_e32 v16, 0x7b, v2
	v_cmp_ne_u64_e32 vcc, s[38:39], v[22:23]
	s_and_saveexec_b64 s[18:19], vcc
	s_xor_b64 s[48:49], exec, s[18:19]
	s_cbranch_execz .LBB2_240
; %bb.231:                              ;   in Loop: Header=BB2_114 Depth=3
	v_and_b32_e32 v22, 0x7fffffff, v10
	v_mov_b32_e32 v23, v41
	v_cmp_gt_u64_e32 vcc, s[40:41], v[22:23]
	s_and_saveexec_b64 s[50:51], vcc
	s_cbranch_execz .LBB2_239
; %bb.232:                              ;   in Loop: Header=BB2_114 Depth=3
	v_cmp_ne_u32_e32 vcc, 0, v10
	v_mov_b32_e32 v16, 0
	s_and_saveexec_b64 s[52:53], vcc
	s_cbranch_execz .LBB2_238
; %bb.233:                              ;   in Loop: Header=BB2_114 Depth=3
	v_bfe_u32 v10, v10, 23, 8
	v_sub_u32_e32 v16, 0x71, v10
	v_cmp_gt_u32_e32 vcc, s67, v10
	v_cndmask_b32_e32 v16, 0, v16, vcc
	v_cmp_eq_u32_e32 vcc, 0, v10
	v_or_b32_e32 v22, 0x800000, v40
	v_cndmask_b32_e32 v16, v16, v55, vcc
	v_add_u32_e32 v11, 0xffffff81, v10
	v_cndmask_b32_e32 v40, v22, v40, vcc
	v_add_u32_e32 v10, 21, v16
	v_cndmask_b32_e32 v23, v11, v54, vcc
	v_lshlrev_b64 v[10:11], v10, -1
	v_add_u32_e32 v22, 20, v16
	v_lshrrev_b64 v[50:51], v16, v[40:41]
	v_not_b32_e32 v11, v11
	v_not_b32_e32 v10, v10
	v_lshlrev_b64 v[36:37], v22, 1
	v_lshrrev_b32_e32 v22, 23, v50
	v_and_b32_e32 v11, 0, v11
	v_and_b32_e32 v10, v40, v10
	v_add3_u32 v23, v16, v23, v22
	v_bfe_u32 v16, v50, 21, 1
	v_add_u32_e32 v16, -1, v16
	v_cmp_eq_u64_e32 vcc, v[10:11], v[36:37]
	v_cndmask_b32_e32 v10, 0, v16, vcc
	v_add_u32_e32 v10, v10, v50
	v_and_b32_e32 v10, 0x1fffff, v10
	v_add_co_u32_e32 v10, vcc, v10, v50
	v_add_u32_e32 v22, 14, v23
	v_addc_co_u32_e32 v11, vcc, 0, v51, vcc
	v_cmp_ne_u32_e32 vcc, 0, v22
                                        ; implicit-def: $vgpr16
	s_and_saveexec_b64 s[18:19], vcc
	s_xor_b64 s[18:19], exec, s[18:19]
; %bb.234:                              ;   in Loop: Header=BB2_114 Depth=3
	v_add_u32_e32 v16, 15, v23
	v_cmp_lt_u64_e32 vcc, s[42:43], v[10:11]
	v_cndmask_b32_e32 v16, v22, v16, vcc
	v_cndmask_b32_e64 v22, 0, 1, vcc
	v_lshrrev_b64 v[10:11], v22, v[10:11]
; %bb.235:                              ;   in Loop: Header=BB2_114 Depth=3
	s_andn2_saveexec_b64 s[18:19], s[18:19]
; %bb.236:                              ;   in Loop: Header=BB2_114 Depth=3
	v_bfe_u32 v16, v10, 23, 1
; %bb.237:                              ;   in Loop: Header=BB2_114 Depth=3
	s_or_b64 exec, exec, s[18:19]
	v_lshrrev_b64 v[10:11], 21, v[10:11]
	v_cmp_gt_i32_e32 vcc, 32, v16
	v_cndmask_b32_e32 v11, 0, v11, vcc
	v_cndmask_b32_e32 v10, 3, v10, vcc
	v_cmp_eq_u64_e64 s[18:19], 0, v[10:11]
	v_min_i32_e32 v11, 31, v16
	v_cmp_eq_u32_e32 vcc, 0, v16
	v_lshlrev_b32_e32 v11, 2, v11
	v_and_or_b32 v10, v10, 3, v11
	s_and_b64 s[18:19], vcc, s[18:19]
	v_cndmask_b32_e64 v10, v10, 0, s[18:19]
	v_or_b32_e32 v16, v10, v2
.LBB2_238:                              ;   in Loop: Header=BB2_114 Depth=3
	s_or_b64 exec, exec, s[52:53]
.LBB2_239:                              ;   in Loop: Header=BB2_114 Depth=3
	s_or_b64 exec, exec, s[50:51]
                                        ; implicit-def: $vgpr10
.LBB2_240:                              ;   in Loop: Header=BB2_114 Depth=3
	s_andn2_saveexec_b64 s[18:19], s[48:49]
; %bb.241:                              ;   in Loop: Header=BB2_114 Depth=3
	v_or_b32_sdwa v2, v10, s68 dst_sel:DWORD dst_unused:UNUSED_PAD src0_sel:BYTE_3 src1_sel:DWORD
	v_cmp_eq_u64_e32 vcc, 0, v[40:41]
	v_cndmask_b32_e32 v16, v2, v16, vcc
; %bb.242:                              ;   in Loop: Header=BB2_114 Depth=3
	s_or_b64 exec, exec, s[18:19]
	v_cmp_ne_u16_sdwa vcc, v18, v41 src0_sel:BYTE_0 src1_sel:DWORD
	v_mov_b32_e32 v2, 0
	v_mov_b32_e32 v10, 0
	s_and_saveexec_b64 s[18:19], vcc
	s_cbranch_execz .LBB2_250
; %bb.243:                              ;   in Loop: Header=BB2_114 Depth=3
	v_cmp_ne_u16_sdwa vcc, sext(v18), s63 src0_sel:BYTE_0 src1_sel:DWORD
	v_bfrev_b32_e32 v10, 1
	s_and_saveexec_b64 s[48:49], vcc
	s_cbranch_execz .LBB2_249
; %bb.244:                              ;   in Loop: Header=BB2_114 Depth=3
	v_and_b32_e32 v10, 0x7c, v18
	v_and_b32_e32 v11, 3, v18
	v_cmp_ne_u32_e32 vcc, s64, v10
                                        ; implicit-def: $vgpr10
	s_and_saveexec_b64 s[50:51], vcc
	s_xor_b64 s[50:51], exec, s[50:51]
	s_cbranch_execz .LBB2_246
; %bb.245:                              ;   in Loop: Header=BB2_114 Depth=3
	v_ffbh_u32_e32 v22, v11
	v_min_u32_e32 v36, 32, v22
	v_bfe_u32 v10, v18, 2, 5
	v_subrev_u32_e32 v22, 29, v36
	v_lshlrev_b64 v[22:23], v22, v[18:19]
	v_sub_u32_e32 v19, 30, v36
	v_cmp_eq_u32_e32 vcc, 0, v10
	v_cndmask_b32_e32 v10, v10, v19, vcc
	v_and_b32_e32 v22, 3, v22
	v_lshlrev_b32_e32 v19, 24, v18
	v_lshl_add_u32 v10, v10, 23, v25
	v_cndmask_b32_e32 v11, v11, v22, vcc
	v_and_or_b32 v10, v19, s65, v10
	v_lshl_or_b32 v10, v11, 21, v10
                                        ; implicit-def: $vgpr11
.LBB2_246:                              ;   in Loop: Header=BB2_114 Depth=3
	s_andn2_saveexec_b64 s[50:51], s[50:51]
; %bb.247:                              ;   in Loop: Header=BB2_114 Depth=3
	v_cmp_gt_i16_sdwa vcc, sext(v18), v30 src0_sel:BYTE_0 src1_sel:DWORD
	v_cndmask_b32_e32 v10, v47, v6, vcc
	v_cmp_eq_u32_e32 vcc, 0, v11
	v_cndmask_b32_e32 v10, v7, v10, vcc
; %bb.248:                              ;   in Loop: Header=BB2_114 Depth=3
	s_or_b64 exec, exec, s[50:51]
.LBB2_249:                              ;   in Loop: Header=BB2_114 Depth=3
	s_or_b64 exec, exec, s[48:49]
.LBB2_250:                              ;   in Loop: Header=BB2_114 Depth=3
	s_or_b64 exec, exec, s[18:19]
	v_alignbit_b32 v40, v62, v26, v27
	v_cmp_ne_u16_sdwa vcc, v40, v41 src0_sel:BYTE_0 src1_sel:DWORD
	s_and_saveexec_b64 s[18:19], vcc
	s_cbranch_execz .LBB2_258
; %bb.251:                              ;   in Loop: Header=BB2_114 Depth=3
	v_cmp_ne_u16_sdwa vcc, sext(v40), s63 src0_sel:BYTE_0 src1_sel:DWORD
	v_bfrev_b32_e32 v2, 1
	s_and_saveexec_b64 s[48:49], vcc
	s_cbranch_execz .LBB2_257
; %bb.252:                              ;   in Loop: Header=BB2_114 Depth=3
	v_and_b32_e32 v2, 0x7c, v40
	v_and_b32_e32 v11, 3, v40
	v_cmp_ne_u32_e32 vcc, s64, v2
                                        ; implicit-def: $vgpr2
	s_and_saveexec_b64 s[50:51], vcc
	s_xor_b64 s[50:51], exec, s[50:51]
	s_cbranch_execz .LBB2_254
; %bb.253:                              ;   in Loop: Header=BB2_114 Depth=3
	v_ffbh_u32_e32 v19, v11
	v_bfe_u32 v2, v40, 2, 5
	v_min_u32_e32 v19, 32, v19
	v_subrev_u32_e32 v22, 29, v19
	v_sub_u32_e32 v19, 30, v19
	v_cmp_eq_u32_e32 vcc, 0, v2
	v_lshlrev_b64 v[22:23], v22, v[40:41]
	v_cndmask_b32_e32 v2, v2, v19, vcc
	v_and_b32_e32 v22, 3, v22
	v_lshlrev_b32_e32 v19, 24, v40
	v_lshl_add_u32 v2, v2, 23, v25
	v_cndmask_b32_e32 v11, v11, v22, vcc
	v_and_or_b32 v2, v19, s65, v2
	v_lshl_or_b32 v2, v11, 21, v2
                                        ; implicit-def: $vgpr11
.LBB2_254:                              ;   in Loop: Header=BB2_114 Depth=3
	s_andn2_saveexec_b64 s[50:51], s[50:51]
; %bb.255:                              ;   in Loop: Header=BB2_114 Depth=3
	v_cmp_gt_i16_sdwa vcc, sext(v40), v30 src0_sel:BYTE_0 src1_sel:DWORD
	v_cndmask_b32_e32 v2, v47, v6, vcc
	v_cmp_eq_u32_e32 vcc, 0, v11
	v_cndmask_b32_e32 v2, v7, v2, vcc
; %bb.256:                              ;   in Loop: Header=BB2_114 Depth=3
	s_or_b64 exec, exec, s[50:51]
.LBB2_257:                              ;   in Loop: Header=BB2_114 Depth=3
	s_or_b64 exec, exec, s[48:49]
.LBB2_258:                              ;   in Loop: Header=BB2_114 Depth=3
	s_or_b64 exec, exec, s[18:19]
	v_mul_f32_e32 v26, v10, v2
	v_and_b32_sdwa v2, v26, s66 dst_sel:DWORD dst_unused:UNUSED_PAD src0_sel:BYTE_3 src1_sel:DWORD
	v_and_b32_e32 v22, 0x7f800000, v26
	v_mov_b32_e32 v23, v41
	v_and_b32_e32 v10, 0x7fffff, v26
	v_mov_b32_e32 v11, v41
	v_or_b32_e32 v19, 0x7b, v2
	v_cmp_ne_u64_e32 vcc, s[38:39], v[22:23]
	s_and_saveexec_b64 s[18:19], vcc
	s_xor_b64 s[48:49], exec, s[18:19]
	s_cbranch_execz .LBB2_268
; %bb.259:                              ;   in Loop: Header=BB2_114 Depth=3
	v_and_b32_e32 v22, 0x7fffffff, v26
	v_mov_b32_e32 v23, v41
	v_cmp_gt_u64_e32 vcc, s[40:41], v[22:23]
	s_and_saveexec_b64 s[50:51], vcc
	s_cbranch_execz .LBB2_267
; %bb.260:                              ;   in Loop: Header=BB2_114 Depth=3
	v_cmp_ne_u32_e32 vcc, 0, v26
	v_mov_b32_e32 v19, 0
	s_and_saveexec_b64 s[52:53], vcc
	s_cbranch_execz .LBB2_266
; %bb.261:                              ;   in Loop: Header=BB2_114 Depth=3
	v_bfe_u32 v19, v26, 23, 8
	v_sub_u32_e32 v23, 0x71, v19
	v_cmp_gt_u32_e32 vcc, s67, v19
	v_cndmask_b32_e32 v23, 0, v23, vcc
	v_cmp_eq_u32_e32 vcc, 0, v19
	v_add_u32_e32 v22, 0xffffff81, v19
	v_cndmask_b32_e32 v50, v23, v55, vcc
	v_cndmask_b32_e32 v19, v22, v54, vcc
	v_add_u32_e32 v22, 21, v50
	v_or_b32_e32 v26, 0x800000, v10
	v_lshlrev_b64 v[22:23], v22, -1
	v_cndmask_b32_e32 v10, v26, v10, vcc
	v_not_b32_e32 v22, v22
	v_and_b32_e32 v26, v10, v22
	v_add_u32_e32 v22, 20, v50
	v_lshrrev_b64 v[10:11], v50, v[10:11]
	v_not_b32_e32 v23, v23
	v_lshlrev_b64 v[36:37], v22, 1
	v_lshrrev_b32_e32 v22, 23, v10
	v_and_b32_e32 v27, 0, v23
	v_add3_u32 v23, v50, v19, v22
	v_bfe_u32 v19, v10, 21, 1
	v_add_u32_e32 v19, -1, v19
	v_cmp_eq_u64_e32 vcc, v[26:27], v[36:37]
	v_cndmask_b32_e32 v19, 0, v19, vcc
	v_add_u32_e32 v19, v19, v10
	v_and_b32_e32 v19, 0x1fffff, v19
	v_add_co_u32_e32 v10, vcc, v19, v10
	v_add_u32_e32 v22, 14, v23
	v_addc_co_u32_e32 v11, vcc, 0, v11, vcc
	v_cmp_ne_u32_e32 vcc, 0, v22
                                        ; implicit-def: $vgpr19
	s_and_saveexec_b64 s[18:19], vcc
	s_xor_b64 s[18:19], exec, s[18:19]
; %bb.262:                              ;   in Loop: Header=BB2_114 Depth=3
	v_add_u32_e32 v19, 15, v23
	v_cmp_lt_u64_e32 vcc, s[42:43], v[10:11]
	v_cndmask_b32_e32 v19, v22, v19, vcc
	v_cndmask_b32_e64 v22, 0, 1, vcc
	v_lshrrev_b64 v[10:11], v22, v[10:11]
; %bb.263:                              ;   in Loop: Header=BB2_114 Depth=3
	s_andn2_saveexec_b64 s[18:19], s[18:19]
; %bb.264:                              ;   in Loop: Header=BB2_114 Depth=3
	v_bfe_u32 v19, v10, 23, 1
; %bb.265:                              ;   in Loop: Header=BB2_114 Depth=3
	s_or_b64 exec, exec, s[18:19]
	v_lshrrev_b64 v[10:11], 21, v[10:11]
	v_cmp_gt_i32_e32 vcc, 32, v19
	v_cndmask_b32_e32 v11, 0, v11, vcc
	v_cndmask_b32_e32 v10, 3, v10, vcc
	v_cmp_eq_u64_e64 s[18:19], 0, v[10:11]
	v_min_i32_e32 v11, 31, v19
	v_cmp_eq_u32_e32 vcc, 0, v19
	v_lshlrev_b32_e32 v11, 2, v11
	v_and_or_b32 v10, v10, 3, v11
	s_and_b64 s[18:19], vcc, s[18:19]
	v_cndmask_b32_e64 v10, v10, 0, s[18:19]
	v_or_b32_e32 v19, v10, v2
.LBB2_266:                              ;   in Loop: Header=BB2_114 Depth=3
	s_or_b64 exec, exec, s[52:53]
.LBB2_267:                              ;   in Loop: Header=BB2_114 Depth=3
	s_or_b64 exec, exec, s[50:51]
                                        ; implicit-def: $vgpr26
                                        ; implicit-def: $vgpr10_vgpr11
.LBB2_268:                              ;   in Loop: Header=BB2_114 Depth=3
	s_andn2_saveexec_b64 s[18:19], s[48:49]
; %bb.269:                              ;   in Loop: Header=BB2_114 Depth=3
	v_or_b32_sdwa v2, v26, s68 dst_sel:DWORD dst_unused:UNUSED_PAD src0_sel:BYTE_3 src1_sel:DWORD
	v_cmp_eq_u64_e32 vcc, 0, v[10:11]
	v_cndmask_b32_e32 v19, v2, v19, vcc
; %bb.270:                              ;   in Loop: Header=BB2_114 Depth=3
	s_or_b64 exec, exec, s[18:19]
	v_lshrrev_b16_e32 v10, 8, v18
	v_cmp_ne_u16_e32 vcc, 0, v10
	v_mov_b32_e32 v2, 0
	v_mov_b32_e32 v26, 0
	s_and_saveexec_b64 s[18:19], vcc
	s_cbranch_execz .LBB2_278
; %bb.271:                              ;   in Loop: Header=BB2_114 Depth=3
	v_cmp_ne_u16_e32 vcc, s66, v10
	v_bfrev_b32_e32 v26, 1
	s_and_saveexec_b64 s[48:49], vcc
	s_cbranch_execz .LBB2_277
; %bb.272:                              ;   in Loop: Header=BB2_114 Depth=3
	v_and_b32_e32 v11, 0x7c, v10
	v_and_b32_e32 v22, 3, v10
	v_cmp_ne_u32_e32 vcc, s64, v11
                                        ; implicit-def: $vgpr26
	s_and_saveexec_b64 s[50:51], vcc
	s_xor_b64 s[50:51], exec, s[50:51]
	s_cbranch_execz .LBB2_274
; %bb.273:                              ;   in Loop: Header=BB2_114 Depth=3
	v_ffbh_u32_e32 v26, v22
	v_min_u32_e32 v26, 32, v26
	v_mov_b32_e32 v11, v41
	v_subrev_u32_e32 v27, 29, v26
	v_bfe_u32 v23, v10, 2, 5
	v_lshlrev_b64 v[10:11], v27, v[10:11]
	v_sub_u32_e32 v11, 30, v26
	v_cmp_eq_u32_e32 vcc, 0, v23
	v_and_b32_e32 v10, 3, v10
	v_cndmask_b32_e32 v11, v23, v11, vcc
	v_cndmask_b32_e32 v10, v22, v10, vcc
	v_lshlrev_b32_e32 v22, 16, v18
	v_lshl_add_u32 v11, v11, 23, v25
	v_and_or_b32 v11, v22, s65, v11
	v_lshl_or_b32 v26, v10, 21, v11
                                        ; implicit-def: $vgpr22
.LBB2_274:                              ;   in Loop: Header=BB2_114 Depth=3
	s_andn2_saveexec_b64 s[50:51], s[50:51]
; %bb.275:                              ;   in Loop: Header=BB2_114 Depth=3
	v_cmp_lt_i16_e32 vcc, -1, v18
	v_cndmask_b32_e32 v10, v47, v6, vcc
	v_cmp_eq_u32_e32 vcc, 0, v22
	v_cndmask_b32_e32 v26, v7, v10, vcc
; %bb.276:                              ;   in Loop: Header=BB2_114 Depth=3
	s_or_b64 exec, exec, s[50:51]
.LBB2_277:                              ;   in Loop: Header=BB2_114 Depth=3
	s_or_b64 exec, exec, s[48:49]
.LBB2_278:                              ;   in Loop: Header=BB2_114 Depth=3
	s_or_b64 exec, exec, s[18:19]
	v_lshrrev_b16_e32 v10, 8, v40
	v_cmp_ne_u16_e32 vcc, 0, v10
	s_and_saveexec_b64 s[18:19], vcc
	s_cbranch_execz .LBB2_286
; %bb.279:                              ;   in Loop: Header=BB2_114 Depth=3
	v_cmp_ne_u16_e32 vcc, s66, v10
	v_bfrev_b32_e32 v2, 1
	s_and_saveexec_b64 s[48:49], vcc
	s_cbranch_execz .LBB2_285
; %bb.280:                              ;   in Loop: Header=BB2_114 Depth=3
	v_and_b32_e32 v2, 0x7c, v10
	v_and_b32_e32 v22, 3, v10
	v_cmp_ne_u32_e32 vcc, s64, v2
                                        ; implicit-def: $vgpr2
	s_and_saveexec_b64 s[50:51], vcc
	s_xor_b64 s[50:51], exec, s[50:51]
	s_cbranch_execz .LBB2_282
; %bb.281:                              ;   in Loop: Header=BB2_114 Depth=3
	v_ffbh_u32_e32 v23, v22
	v_min_u32_e32 v23, 32, v23
	v_mov_b32_e32 v11, v41
	v_subrev_u32_e32 v27, 29, v23
	v_bfe_u32 v2, v10, 2, 5
	v_lshlrev_b64 v[10:11], v27, v[10:11]
	v_sub_u32_e32 v11, 30, v23
	v_cmp_eq_u32_e32 vcc, 0, v2
	v_cndmask_b32_e32 v2, v2, v11, vcc
	v_and_b32_e32 v10, 3, v10
	v_lshlrev_b32_e32 v11, 16, v40
	v_lshl_add_u32 v2, v2, 23, v25
	v_cndmask_b32_e32 v10, v22, v10, vcc
	v_and_or_b32 v2, v11, s65, v2
	v_lshl_or_b32 v2, v10, 21, v2
                                        ; implicit-def: $vgpr22
.LBB2_282:                              ;   in Loop: Header=BB2_114 Depth=3
	s_andn2_saveexec_b64 s[50:51], s[50:51]
; %bb.283:                              ;   in Loop: Header=BB2_114 Depth=3
	v_cmp_lt_i16_e32 vcc, -1, v40
	v_cndmask_b32_e32 v2, v47, v6, vcc
	v_cmp_eq_u32_e32 vcc, 0, v22
	v_cndmask_b32_e32 v2, v7, v2, vcc
; %bb.284:                              ;   in Loop: Header=BB2_114 Depth=3
	s_or_b64 exec, exec, s[50:51]
.LBB2_285:                              ;   in Loop: Header=BB2_114 Depth=3
	s_or_b64 exec, exec, s[48:49]
.LBB2_286:                              ;   in Loop: Header=BB2_114 Depth=3
	s_or_b64 exec, exec, s[18:19]
	v_mul_f32_e32 v27, v26, v2
	v_and_b32_sdwa v2, v27, s66 dst_sel:DWORD dst_unused:UNUSED_PAD src0_sel:BYTE_3 src1_sel:DWORD
	v_and_b32_e32 v22, 0x7f800000, v27
	v_mov_b32_e32 v23, v41
	v_and_b32_e32 v10, 0x7fffff, v27
	v_mov_b32_e32 v11, v41
	v_or_b32_e32 v26, 0x7b, v2
	v_cmp_ne_u64_e32 vcc, s[38:39], v[22:23]
	s_and_saveexec_b64 s[18:19], vcc
	s_xor_b64 s[48:49], exec, s[18:19]
	s_cbranch_execz .LBB2_296
; %bb.287:                              ;   in Loop: Header=BB2_114 Depth=3
	v_and_b32_e32 v22, 0x7fffffff, v27
	v_mov_b32_e32 v23, v41
	v_cmp_gt_u64_e32 vcc, s[40:41], v[22:23]
	s_and_saveexec_b64 s[50:51], vcc
	s_cbranch_execz .LBB2_295
; %bb.288:                              ;   in Loop: Header=BB2_114 Depth=3
	v_cmp_ne_u32_e32 vcc, 0, v27
	v_mov_b32_e32 v26, 0
	s_and_saveexec_b64 s[52:53], vcc
	s_cbranch_execz .LBB2_294
; %bb.289:                              ;   in Loop: Header=BB2_114 Depth=3
	v_bfe_u32 v22, v27, 23, 8
	v_sub_u32_e32 v26, 0x71, v22
	v_cmp_gt_u32_e32 vcc, s67, v22
	v_cndmask_b32_e32 v26, 0, v26, vcc
	v_cmp_eq_u32_e32 vcc, 0, v22
	v_cndmask_b32_e32 v51, v26, v55, vcc
	v_add_u32_e32 v23, 0xffffff81, v22
	v_add_u32_e32 v22, 21, v51
	v_or_b32_e32 v27, 0x800000, v10
	v_cndmask_b32_e32 v50, v23, v54, vcc
	v_lshlrev_b64 v[22:23], v22, -1
	v_cndmask_b32_e32 v10, v27, v10, vcc
	v_not_b32_e32 v22, v22
	v_and_b32_e32 v26, v10, v22
	v_add_u32_e32 v22, 20, v51
	v_lshrrev_b64 v[10:11], v51, v[10:11]
	v_not_b32_e32 v23, v23
	v_lshlrev_b64 v[36:37], v22, 1
	v_lshrrev_b32_e32 v22, 23, v10
	v_and_b32_e32 v27, 0, v23
	v_add3_u32 v23, v51, v50, v22
	v_bfe_u32 v50, v10, 21, 1
	v_add_u32_e32 v50, -1, v50
	v_cmp_eq_u64_e32 vcc, v[26:27], v[36:37]
	v_cndmask_b32_e32 v26, 0, v50, vcc
	v_add_u32_e32 v26, v26, v10
	v_and_b32_e32 v26, 0x1fffff, v26
	v_add_co_u32_e32 v10, vcc, v26, v10
	v_add_u32_e32 v22, 14, v23
	v_addc_co_u32_e32 v11, vcc, 0, v11, vcc
	v_cmp_ne_u32_e32 vcc, 0, v22
                                        ; implicit-def: $vgpr26
	s_and_saveexec_b64 s[18:19], vcc
	s_xor_b64 s[18:19], exec, s[18:19]
; %bb.290:                              ;   in Loop: Header=BB2_114 Depth=3
	v_add_u32_e32 v23, 15, v23
	v_cmp_lt_u64_e32 vcc, s[42:43], v[10:11]
	v_cndmask_b32_e32 v26, v22, v23, vcc
	v_cndmask_b32_e64 v22, 0, 1, vcc
	v_lshrrev_b64 v[10:11], v22, v[10:11]
; %bb.291:                              ;   in Loop: Header=BB2_114 Depth=3
	s_andn2_saveexec_b64 s[18:19], s[18:19]
; %bb.292:                              ;   in Loop: Header=BB2_114 Depth=3
	v_bfe_u32 v26, v10, 23, 1
; %bb.293:                              ;   in Loop: Header=BB2_114 Depth=3
	s_or_b64 exec, exec, s[18:19]
	v_lshrrev_b64 v[10:11], 21, v[10:11]
	v_cmp_gt_i32_e32 vcc, 32, v26
	v_cndmask_b32_e32 v11, 0, v11, vcc
	v_cndmask_b32_e32 v10, 3, v10, vcc
	v_cmp_eq_u64_e64 s[18:19], 0, v[10:11]
	v_min_i32_e32 v11, 31, v26
	v_cmp_eq_u32_e32 vcc, 0, v26
	v_lshlrev_b32_e32 v11, 2, v11
	v_and_or_b32 v10, v10, 3, v11
	s_and_b64 s[18:19], vcc, s[18:19]
	v_cndmask_b32_e64 v10, v10, 0, s[18:19]
	v_or_b32_e32 v26, v10, v2
.LBB2_294:                              ;   in Loop: Header=BB2_114 Depth=3
	s_or_b64 exec, exec, s[52:53]
.LBB2_295:                              ;   in Loop: Header=BB2_114 Depth=3
	s_or_b64 exec, exec, s[50:51]
                                        ; implicit-def: $vgpr27
                                        ; implicit-def: $vgpr10_vgpr11
.LBB2_296:                              ;   in Loop: Header=BB2_114 Depth=3
	s_andn2_saveexec_b64 s[18:19], s[48:49]
; %bb.297:                              ;   in Loop: Header=BB2_114 Depth=3
	v_or_b32_sdwa v2, v27, s68 dst_sel:DWORD dst_unused:UNUSED_PAD src0_sel:BYTE_3 src1_sel:DWORD
	v_cmp_eq_u64_e32 vcc, 0, v[10:11]
	v_cndmask_b32_e32 v26, v2, v26, vcc
; %bb.298:                              ;   in Loop: Header=BB2_114 Depth=3
	s_or_b64 exec, exec, s[18:19]
	v_lshrrev_b32_e32 v2, 16, v18
	v_cmp_ne_u16_sdwa vcc, v2, v41 src0_sel:BYTE_0 src1_sel:DWORD
	v_mov_b32_e32 v10, 0
	v_mov_b32_e32 v11, 0
	s_and_saveexec_b64 s[18:19], vcc
	s_cbranch_execz .LBB2_306
; %bb.299:                              ;   in Loop: Header=BB2_114 Depth=3
	v_cmp_ne_u16_sdwa vcc, v2, s66 src0_sel:BYTE_0 src1_sel:DWORD
	v_bfrev_b32_e32 v11, 1
	s_and_saveexec_b64 s[48:49], vcc
	s_cbranch_execz .LBB2_305
; %bb.300:                              ;   in Loop: Header=BB2_114 Depth=3
	v_and_b32_e32 v11, 0x7c0000, v18
	v_bfe_u32 v27, v18, 16, 2
	v_cmp_ne_u32_e32 vcc, s69, v11
                                        ; implicit-def: $vgpr11
	s_and_saveexec_b64 s[50:51], vcc
	s_xor_b64 s[50:51], exec, s[50:51]
	s_cbranch_execz .LBB2_302
; %bb.301:                              ;   in Loop: Header=BB2_114 Depth=3
	v_ffbh_u32_e32 v22, v27
	v_min_u32_e32 v36, 32, v22
	v_bfe_u32 v11, v18, 18, 5
	v_subrev_u32_e32 v22, 29, v36
	v_lshlrev_b64 v[22:23], v22, v[2:3]
	v_sub_u32_e32 v2, 30, v36
	v_cmp_eq_u32_e32 vcc, 0, v11
	v_and_b32_e32 v22, 3, v22
	v_cndmask_b32_e32 v2, v11, v2, vcc
	v_cndmask_b32_e32 v11, v27, v22, vcc
	v_lshlrev_b32_e32 v22, 8, v18
	v_lshl_add_u32 v2, v2, 23, v25
	v_and_or_b32 v2, v22, s65, v2
	v_lshl_or_b32 v11, v11, 21, v2
                                        ; implicit-def: $vgpr27
                                        ; implicit-def: $vgpr2
.LBB2_302:                              ;   in Loop: Header=BB2_114 Depth=3
	s_andn2_saveexec_b64 s[50:51], s[50:51]
; %bb.303:                              ;   in Loop: Header=BB2_114 Depth=3
	v_cmp_gt_i16_sdwa vcc, sext(v2), v30 src0_sel:BYTE_0 src1_sel:DWORD
	v_cndmask_b32_e32 v2, v47, v6, vcc
	v_cmp_eq_u32_e32 vcc, 0, v27
	v_cndmask_b32_e32 v11, v7, v2, vcc
; %bb.304:                              ;   in Loop: Header=BB2_114 Depth=3
	s_or_b64 exec, exec, s[50:51]
.LBB2_305:                              ;   in Loop: Header=BB2_114 Depth=3
	s_or_b64 exec, exec, s[48:49]
.LBB2_306:                              ;   in Loop: Header=BB2_114 Depth=3
	s_or_b64 exec, exec, s[18:19]
	v_and_b32_sdwa v22, v40, s62 dst_sel:DWORD dst_unused:UNUSED_PAD src0_sel:WORD_1 src1_sel:DWORD
	v_lshrrev_b32_e32 v2, 16, v40
	v_cmp_ne_u16_e32 vcc, 0, v22
	s_and_saveexec_b64 s[18:19], vcc
	s_cbranch_execz .LBB2_314
; %bb.307:                              ;   in Loop: Header=BB2_114 Depth=3
	v_cmp_ne_u16_e32 vcc, s66, v22
	v_bfrev_b32_e32 v10, 1
	s_and_saveexec_b64 s[48:49], vcc
	s_cbranch_execz .LBB2_313
; %bb.308:                              ;   in Loop: Header=BB2_114 Depth=3
	v_and_b32_e32 v10, 0x7c0000, v40
	v_bfe_u32 v27, v40, 16, 2
	v_cmp_ne_u32_e32 vcc, s69, v10
                                        ; implicit-def: $vgpr10
	s_and_saveexec_b64 s[50:51], vcc
	s_xor_b64 s[50:51], exec, s[50:51]
	s_cbranch_execz .LBB2_310
; %bb.309:                              ;   in Loop: Header=BB2_114 Depth=3
	v_ffbh_u32_e32 v22, v27
	v_min_u32_e32 v36, 32, v22
	v_bfe_u32 v10, v40, 18, 5
	v_subrev_u32_e32 v22, 29, v36
	v_lshlrev_b64 v[22:23], v22, v[2:3]
	v_sub_u32_e32 v2, 30, v36
	v_cmp_eq_u32_e32 vcc, 0, v10
	v_and_b32_e32 v22, 3, v22
	v_cndmask_b32_e32 v2, v10, v2, vcc
	v_cndmask_b32_e32 v10, v27, v22, vcc
	v_lshlrev_b32_e32 v22, 8, v40
	v_lshl_add_u32 v2, v2, 23, v25
	v_and_or_b32 v2, v22, s65, v2
	v_lshl_or_b32 v10, v10, 21, v2
                                        ; implicit-def: $vgpr27
                                        ; implicit-def: $vgpr2
.LBB2_310:                              ;   in Loop: Header=BB2_114 Depth=3
	s_andn2_saveexec_b64 s[50:51], s[50:51]
; %bb.311:                              ;   in Loop: Header=BB2_114 Depth=3
	v_cmp_gt_i16_sdwa vcc, sext(v2), v30 src0_sel:BYTE_0 src1_sel:DWORD
	v_cndmask_b32_e32 v2, v47, v6, vcc
	v_cmp_eq_u32_e32 vcc, 0, v27
	v_cndmask_b32_e32 v10, v7, v2, vcc
; %bb.312:                              ;   in Loop: Header=BB2_114 Depth=3
	s_or_b64 exec, exec, s[50:51]
.LBB2_313:                              ;   in Loop: Header=BB2_114 Depth=3
	s_or_b64 exec, exec, s[48:49]
.LBB2_314:                              ;   in Loop: Header=BB2_114 Depth=3
	s_or_b64 exec, exec, s[18:19]
	v_mul_f32_e32 v46, v11, v10
	v_and_b32_sdwa v2, v46, s66 dst_sel:DWORD dst_unused:UNUSED_PAD src0_sel:BYTE_3 src1_sel:DWORD
	v_and_b32_e32 v22, 0x7f800000, v46
	v_mov_b32_e32 v23, v41
	v_and_b32_e32 v10, 0x7fffff, v46
	v_mov_b32_e32 v11, v41
	v_or_b32_e32 v27, 0x7b, v2
	v_cmp_ne_u64_e32 vcc, s[38:39], v[22:23]
	s_and_saveexec_b64 s[18:19], vcc
	s_xor_b64 s[48:49], exec, s[18:19]
	s_cbranch_execz .LBB2_324
; %bb.315:                              ;   in Loop: Header=BB2_114 Depth=3
	v_and_b32_e32 v22, 0x7fffffff, v46
	v_mov_b32_e32 v23, v41
	v_cmp_gt_u64_e32 vcc, s[40:41], v[22:23]
	s_and_saveexec_b64 s[50:51], vcc
	s_cbranch_execz .LBB2_323
; %bb.316:                              ;   in Loop: Header=BB2_114 Depth=3
	v_cmp_ne_u32_e32 vcc, 0, v46
	v_mov_b32_e32 v27, 0
	s_and_saveexec_b64 s[52:53], vcc
	s_cbranch_execz .LBB2_322
; %bb.317:                              ;   in Loop: Header=BB2_114 Depth=3
	v_bfe_u32 v22, v46, 23, 8
	v_sub_u32_e32 v27, 0x71, v22
	v_cmp_gt_u32_e32 vcc, s67, v22
	v_cndmask_b32_e32 v27, 0, v27, vcc
	v_cmp_eq_u32_e32 vcc, 0, v22
	v_cndmask_b32_e32 v27, v27, v55, vcc
	v_add_u32_e32 v23, 0xffffff81, v22
	v_add_u32_e32 v22, 21, v27
	v_or_b32_e32 v36, 0x800000, v10
	v_cndmask_b32_e32 v46, v23, v54, vcc
	v_lshlrev_b64 v[22:23], v22, -1
	v_cndmask_b32_e32 v10, v36, v10, vcc
	v_not_b32_e32 v22, v22
	v_and_b32_e32 v36, v10, v22
	v_add_u32_e32 v22, 20, v27
	v_lshrrev_b64 v[10:11], v27, v[10:11]
	v_not_b32_e32 v23, v23
	v_lshlrev_b64 v[50:51], v22, 1
	v_lshrrev_b32_e32 v22, 23, v10
	v_and_b32_e32 v37, 0, v23
	v_add3_u32 v23, v27, v46, v22
	v_bfe_u32 v27, v10, 21, 1
	v_add_u32_e32 v27, -1, v27
	v_cmp_eq_u64_e32 vcc, v[36:37], v[50:51]
	v_cndmask_b32_e32 v27, 0, v27, vcc
	v_add_u32_e32 v27, v27, v10
	v_and_b32_e32 v27, 0x1fffff, v27
	v_add_co_u32_e32 v10, vcc, v27, v10
	v_add_u32_e32 v22, 14, v23
	v_addc_co_u32_e32 v11, vcc, 0, v11, vcc
	v_cmp_ne_u32_e32 vcc, 0, v22
                                        ; implicit-def: $vgpr27
	s_and_saveexec_b64 s[18:19], vcc
	s_xor_b64 s[18:19], exec, s[18:19]
; %bb.318:                              ;   in Loop: Header=BB2_114 Depth=3
	v_add_u32_e32 v23, 15, v23
	v_cmp_lt_u64_e32 vcc, s[42:43], v[10:11]
	v_cndmask_b32_e32 v27, v22, v23, vcc
	v_cndmask_b32_e64 v22, 0, 1, vcc
	v_lshrrev_b64 v[10:11], v22, v[10:11]
; %bb.319:                              ;   in Loop: Header=BB2_114 Depth=3
	s_andn2_saveexec_b64 s[18:19], s[18:19]
; %bb.320:                              ;   in Loop: Header=BB2_114 Depth=3
	v_bfe_u32 v27, v10, 23, 1
; %bb.321:                              ;   in Loop: Header=BB2_114 Depth=3
	s_or_b64 exec, exec, s[18:19]
	v_lshrrev_b64 v[10:11], 21, v[10:11]
	v_cmp_gt_i32_e32 vcc, 32, v27
	v_cndmask_b32_e32 v11, 0, v11, vcc
	v_cndmask_b32_e32 v10, 3, v10, vcc
	v_cmp_eq_u64_e64 s[18:19], 0, v[10:11]
	v_min_i32_e32 v11, 31, v27
	v_lshlrev_b32_e32 v11, 2, v11
	v_cmp_eq_u32_e32 vcc, 0, v27
	v_and_b32_e32 v11, 0xfc, v11
	v_and_or_b32 v10, v10, 3, v11
	s_and_b64 s[18:19], vcc, s[18:19]
	v_cndmask_b32_e64 v10, v10, 0, s[18:19]
	v_or_b32_e32 v27, v10, v2
.LBB2_322:                              ;   in Loop: Header=BB2_114 Depth=3
	s_or_b64 exec, exec, s[52:53]
.LBB2_323:                              ;   in Loop: Header=BB2_114 Depth=3
	s_or_b64 exec, exec, s[50:51]
                                        ; implicit-def: $vgpr46
                                        ; implicit-def: $vgpr10_vgpr11
.LBB2_324:                              ;   in Loop: Header=BB2_114 Depth=3
	s_andn2_saveexec_b64 s[18:19], s[48:49]
; %bb.325:                              ;   in Loop: Header=BB2_114 Depth=3
	v_or_b32_sdwa v2, v46, s68 dst_sel:DWORD dst_unused:UNUSED_PAD src0_sel:BYTE_3 src1_sel:DWORD
	v_cmp_eq_u64_e32 vcc, 0, v[10:11]
	v_cndmask_b32_e32 v27, v2, v27, vcc
; %bb.326:                              ;   in Loop: Header=BB2_114 Depth=3
	s_or_b64 exec, exec, s[18:19]
	v_mov_b32_e32 v10, v41
	v_mov_b32_e32 v11, v18
	v_cmp_lt_u64_e32 vcc, s[36:37], v[10:11]
	v_mov_b32_e32 v62, 0
	v_mov_b32_e32 v46, 0
	s_and_saveexec_b64 s[18:19], vcc
	s_cbranch_execz .LBB2_334
; %bb.327:                              ;   in Loop: Header=BB2_114 Depth=3
	v_lshrrev_b32_e32 v2, 24, v18
	v_cmp_ne_u32_e32 vcc, s66, v2
	v_bfrev_b32_e32 v46, 1
	s_and_saveexec_b64 s[48:49], vcc
	s_cbranch_execz .LBB2_333
; %bb.328:                              ;   in Loop: Header=BB2_114 Depth=3
	v_and_b32_e32 v23, 0x7c000000, v18
	v_bfe_u32 v22, v18, 24, 2
	v_cmp_ne_u32_e32 vcc, s70, v23
                                        ; implicit-def: $vgpr46
	s_and_saveexec_b64 s[50:51], vcc
	s_xor_b64 s[50:51], exec, s[50:51]
	s_cbranch_execz .LBB2_330
; %bb.329:                              ;   in Loop: Header=BB2_114 Depth=3
	v_ffbh_u32_e32 v10, v22
	v_min_u32_e32 v36, 32, v10
	v_bfe_u32 v23, v18, 26, 5
	v_subrev_u32_e32 v10, 29, v36
	v_lshlrev_b64 v[10:11], v10, v[2:3]
	v_sub_u32_e32 v2, 30, v36
	v_cmp_eq_u32_e32 vcc, 0, v23
	v_cndmask_b32_e32 v2, v23, v2, vcc
	v_and_b32_e32 v10, 3, v10
	v_lshl_add_u32 v2, v2, 23, v25
	v_cndmask_b32_e32 v10, v22, v10, vcc
	v_and_or_b32 v2, v18, s65, v2
	v_lshl_or_b32 v46, v10, 21, v2
                                        ; implicit-def: $vgpr22
                                        ; implicit-def: $vgpr10_vgpr11
.LBB2_330:                              ;   in Loop: Header=BB2_114 Depth=3
	s_andn2_saveexec_b64 s[50:51], s[50:51]
; %bb.331:                              ;   in Loop: Header=BB2_114 Depth=3
	v_cmp_lt_i64_e32 vcc, -1, v[10:11]
	v_cndmask_b32_e32 v2, v47, v6, vcc
	v_cmp_eq_u32_e32 vcc, 0, v22
	v_cndmask_b32_e32 v46, v7, v2, vcc
; %bb.332:                              ;   in Loop: Header=BB2_114 Depth=3
	s_or_b64 exec, exec, s[50:51]
.LBB2_333:                              ;   in Loop: Header=BB2_114 Depth=3
	s_or_b64 exec, exec, s[48:49]
.LBB2_334:                              ;   in Loop: Header=BB2_114 Depth=3
	s_or_b64 exec, exec, s[18:19]
	v_cmp_lt_u32_e32 vcc, s37, v40
	s_and_saveexec_b64 s[18:19], vcc
	s_cbranch_execz .LBB2_342
; %bb.335:                              ;   in Loop: Header=BB2_114 Depth=3
	v_lshrrev_b32_e32 v2, 24, v40
	v_cmp_ne_u32_e32 vcc, s66, v2
	v_bfrev_b32_e32 v62, 1
	s_and_saveexec_b64 s[48:49], vcc
	s_cbranch_execz .LBB2_341
; %bb.336:                              ;   in Loop: Header=BB2_114 Depth=3
	v_and_b32_e32 v11, 0x7c000000, v40
	v_bfe_u32 v10, v40, 24, 2
	v_cmp_ne_u32_e32 vcc, s70, v11
                                        ; implicit-def: $vgpr62
	s_and_saveexec_b64 s[50:51], vcc
	s_xor_b64 s[50:51], exec, s[50:51]
	s_cbranch_execz .LBB2_338
; %bb.337:                              ;   in Loop: Header=BB2_114 Depth=3
	v_ffbh_u32_e32 v18, v10
	v_min_u32_e32 v18, 32, v18
	v_bfe_u32 v11, v40, 26, 5
	v_subrev_u32_e32 v22, 29, v18
	v_lshlrev_b64 v[22:23], v22, v[2:3]
	v_sub_u32_e32 v2, 30, v18
	v_cmp_eq_u32_e32 vcc, 0, v11
	v_cndmask_b32_e32 v2, v11, v2, vcc
	v_and_b32_e32 v18, 3, v22
	v_lshl_add_u32 v2, v2, 23, v25
	v_cndmask_b32_e32 v10, v10, v18, vcc
	v_and_or_b32 v2, v40, s65, v2
	v_lshl_or_b32 v62, v10, 21, v2
                                        ; implicit-def: $vgpr10
.LBB2_338:                              ;   in Loop: Header=BB2_114 Depth=3
	s_andn2_saveexec_b64 s[50:51], s[50:51]
; %bb.339:                              ;   in Loop: Header=BB2_114 Depth=3
	v_cmp_lt_i32_e32 vcc, -1, v40
	v_cndmask_b32_e32 v2, v47, v6, vcc
	v_cmp_eq_u32_e32 vcc, 0, v10
	v_cndmask_b32_e32 v62, v7, v2, vcc
; %bb.340:                              ;   in Loop: Header=BB2_114 Depth=3
	s_or_b64 exec, exec, s[50:51]
.LBB2_341:                              ;   in Loop: Header=BB2_114 Depth=3
	s_or_b64 exec, exec, s[48:49]
.LBB2_342:                              ;   in Loop: Header=BB2_114 Depth=3
	s_or_b64 exec, exec, s[18:19]
	v_mul_f32_e32 v11, v46, v62
	v_and_b32_sdwa v2, v11, s66 dst_sel:DWORD dst_unused:UNUSED_PAD src0_sel:BYTE_3 src1_sel:DWORD
	v_and_b32_e32 v22, 0x7f800000, v11
	v_mov_b32_e32 v23, v41
	v_and_b32_e32 v40, 0x7fffff, v11
	v_or_b32_e32 v10, 0x7b, v2
	v_cmp_ne_u64_e32 vcc, s[38:39], v[22:23]
	s_and_saveexec_b64 s[18:19], vcc
	s_xor_b64 s[48:49], exec, s[18:19]
	s_cbranch_execz .LBB2_352
; %bb.343:                              ;   in Loop: Header=BB2_114 Depth=3
	v_and_b32_e32 v22, 0x7fffffff, v11
	v_mov_b32_e32 v23, v41
	v_cmp_gt_u64_e32 vcc, s[40:41], v[22:23]
	s_and_saveexec_b64 s[50:51], vcc
	s_cbranch_execz .LBB2_351
; %bb.344:                              ;   in Loop: Header=BB2_114 Depth=3
	v_cmp_ne_u32_e32 vcc, 0, v11
	v_mov_b32_e32 v10, 0
	s_and_saveexec_b64 s[52:53], vcc
	s_cbranch_execz .LBB2_350
; %bb.345:                              ;   in Loop: Header=BB2_114 Depth=3
	v_bfe_u32 v10, v11, 23, 8
	v_sub_u32_e32 v18, 0x71, v10
	v_cmp_gt_u32_e32 vcc, s67, v10
	v_cndmask_b32_e32 v18, 0, v18, vcc
	v_cmp_eq_u32_e32 vcc, 0, v10
	v_or_b32_e32 v22, 0x800000, v40
	v_cndmask_b32_e32 v18, v18, v55, vcc
	v_add_u32_e32 v11, 0xffffff81, v10
	v_cndmask_b32_e32 v40, v22, v40, vcc
	v_add_u32_e32 v10, 21, v18
	v_cndmask_b32_e32 v23, v11, v54, vcc
	v_lshlrev_b64 v[10:11], v10, -1
	v_add_u32_e32 v22, 20, v18
	v_lshrrev_b64 v[50:51], v18, v[40:41]
	v_not_b32_e32 v11, v11
	v_not_b32_e32 v10, v10
	v_lshlrev_b64 v[36:37], v22, 1
	v_lshrrev_b32_e32 v22, 23, v50
	v_and_b32_e32 v11, 0, v11
	v_and_b32_e32 v10, v40, v10
	v_add3_u32 v23, v18, v23, v22
	v_bfe_u32 v18, v50, 21, 1
	v_add_u32_e32 v18, -1, v18
	v_cmp_eq_u64_e32 vcc, v[10:11], v[36:37]
	v_cndmask_b32_e32 v10, 0, v18, vcc
	v_add_u32_e32 v10, v10, v50
	v_and_b32_e32 v10, 0x1fffff, v10
	v_add_co_u32_e32 v10, vcc, v10, v50
	v_add_u32_e32 v22, 14, v23
	v_addc_co_u32_e32 v11, vcc, 0, v51, vcc
	v_cmp_ne_u32_e32 vcc, 0, v22
                                        ; implicit-def: $vgpr18
	s_and_saveexec_b64 s[18:19], vcc
	s_xor_b64 s[18:19], exec, s[18:19]
; %bb.346:                              ;   in Loop: Header=BB2_114 Depth=3
	v_add_u32_e32 v18, 15, v23
	v_cmp_lt_u64_e32 vcc, s[42:43], v[10:11]
	v_cndmask_b32_e32 v18, v22, v18, vcc
	v_cndmask_b32_e64 v22, 0, 1, vcc
	v_lshrrev_b64 v[10:11], v22, v[10:11]
; %bb.347:                              ;   in Loop: Header=BB2_114 Depth=3
	s_andn2_saveexec_b64 s[18:19], s[18:19]
; %bb.348:                              ;   in Loop: Header=BB2_114 Depth=3
	v_bfe_u32 v18, v10, 23, 1
; %bb.349:                              ;   in Loop: Header=BB2_114 Depth=3
	s_or_b64 exec, exec, s[18:19]
	v_lshrrev_b64 v[10:11], 21, v[10:11]
	v_cmp_gt_i32_e32 vcc, 32, v18
	v_cndmask_b32_e32 v11, 0, v11, vcc
	v_cndmask_b32_e32 v10, 3, v10, vcc
	v_cmp_eq_u64_e64 s[18:19], 0, v[10:11]
	v_min_i32_e32 v11, 31, v18
	v_lshlrev_b32_e32 v11, 2, v11
	v_cmp_eq_u32_e32 vcc, 0, v18
	v_and_b32_e32 v11, 0xfc, v11
	v_and_or_b32 v10, v10, 3, v11
	s_and_b64 s[18:19], vcc, s[18:19]
	v_cndmask_b32_e64 v10, v10, 0, s[18:19]
	v_or_b32_e32 v10, v10, v2
.LBB2_350:                              ;   in Loop: Header=BB2_114 Depth=3
	s_or_b64 exec, exec, s[52:53]
.LBB2_351:                              ;   in Loop: Header=BB2_114 Depth=3
	s_or_b64 exec, exec, s[50:51]
                                        ; implicit-def: $vgpr11
.LBB2_352:                              ;   in Loop: Header=BB2_114 Depth=3
	s_andn2_saveexec_b64 s[18:19], s[48:49]
	s_cbranch_execz .LBB2_113
; %bb.353:                              ;   in Loop: Header=BB2_114 Depth=3
	v_or_b32_sdwa v2, v11, s68 dst_sel:DWORD dst_unused:UNUSED_PAD src0_sel:BYTE_3 src1_sel:DWORD
	v_cmp_eq_u64_e32 vcc, 0, v[40:41]
	v_cndmask_b32_e32 v10, v2, v10, vcc
	s_branch .LBB2_113
.LBB2_354:                              ;   in Loop: Header=BB2_70 Depth=2
	s_or_b64 exec, exec, s[46:47]
	v_accvgpr_read_b32 v33, a11
	v_accvgpr_read_b32 v8, a42
	;; [unrolled: 1-line block ×5, first 2 shown]
	s_or_b64 exec, exec, s[44:45]
	s_and_saveexec_b64 s[18:19], s[10:11]
	s_cbranch_execz .LBB2_74
.LBB2_355:                              ;   in Loop: Header=BB2_70 Depth=2
	s_and_saveexec_b64 vcc, s[28:29]
	s_xor_b64 s[44:45], exec, vcc
	s_cbranch_execz .LBB2_370
; %bb.356:                              ;   in Loop: Header=BB2_70 Depth=2
	s_and_saveexec_b64 s[46:47], s[12:13]
	s_cbranch_execz .LBB2_369
; %bb.357:                              ;   in Loop: Header=BB2_70 Depth=2
	s_mov_b64 s[50:51], exec
	v_mbcnt_lo_u32_b32 v1, s50, 0
	v_mbcnt_hi_u32_b32 v1, s51, v1
	v_cmp_eq_u32_e32 vcc, 0, v1
	s_waitcnt vmcnt(0) lgkmcnt(0)
	buffer_wbinvl1_vol
	s_and_saveexec_b64 s[48:49], vcc
	s_cbranch_execz .LBB2_359
; %bb.358:                              ;   in Loop: Header=BB2_70 Depth=2
	s_bcnt1_i32_b64 vcc_lo, s[50:51]
	v_mov_b32_e32 v40, vcc_lo
	ds_add_u64 v0, v[40:41]
	s_trap 2
.LBB2_359:                              ;   in Loop: Header=BB2_70 Depth=2
	s_or_b64 exec, exec, s[48:49]
	s_trap 2
	ds_read_b64 v[2:3], v0
	v_accvgpr_read_b32 v4, a30
	v_add_co_u32_e32 v42, vcc, v42, v4
	v_accvgpr_read_b32 v1, a41
	v_addc_co_u32_e32 v43, vcc, v43, v1, vcc
	s_waitcnt lgkmcnt(0)
	v_cmp_lt_u64_e32 vcc, v[2:3], v[42:43]
	s_and_saveexec_b64 s[48:49], vcc
	s_cbranch_execz .LBB2_368
; %bb.360:                              ;   in Loop: Header=BB2_70 Depth=2
	s_mov_b32 s76, 0
	s_mov_b64 s[50:51], 0
                                        ; implicit-def: $sgpr52_sgpr53
                                        ; implicit-def: $sgpr54_sgpr55
	s_branch .LBB2_362
.LBB2_361:                              ;   in Loop: Header=BB2_362 Depth=3
	s_or_b64 exec, exec, s[58:59]
	s_and_b64 vcc, exec, vcc
	s_or_b64 s[50:51], vcc, s[50:51]
	s_andn2_b64 vcc, s[52:53], exec
	s_and_b64 s[52:53], s[54:55], exec
	s_or_b64 s[52:53], vcc, s[52:53]
	s_andn2_b64 exec, exec, s[50:51]
	s_cbranch_execz .LBB2_366
.LBB2_362:                              ;   Parent Loop BB2_21 Depth=1
                                        ;     Parent Loop BB2_70 Depth=2
                                        ; =>    This Inner Loop Header: Depth=3
	s_add_i32 s76, s76, 1
	s_cmpk_lg_i32 s76, 0x2710
	s_cselect_b64 s[56:57], -1, 0
	s_and_b64 vcc, exec, s[56:57]
                                        ; implicit-def: $sgpr58_sgpr59
	s_cbranch_vccnz .LBB2_364
; %bb.363:                              ;   in Loop: Header=BB2_362 Depth=3
	s_trap 2
	ds_read_b64 v[2:3], v0
	s_andn2_b64 s[56:57], s[56:57], exec
	s_mov_b32 s76, 0
	s_mov_b64 s[58:59], -1
	s_waitcnt lgkmcnt(0)
	flat_load_dword v1, v[2:3] glc
	s_waitcnt vmcnt(0) lgkmcnt(0)
	buffer_invl2
	buffer_wbinvl1_vol
	v_cmp_eq_u32_e32 vcc, 0, v1
	s_and_b64 vcc, vcc, exec
	s_or_b64 s[56:57], s[56:57], vcc
.LBB2_364:                              ;   in Loop: Header=BB2_362 Depth=3
	s_andn2_b64 s[54:55], s[54:55], exec
	s_and_b64 s[58:59], s[58:59], exec
	s_mov_b64 vcc, -1
	s_or_b64 s[54:55], s[54:55], s[58:59]
	s_and_saveexec_b64 s[58:59], s[56:57]
	s_cbranch_execz .LBB2_361
; %bb.365:                              ;   in Loop: Header=BB2_362 Depth=3
	s_sleep 1
	s_trap 2
	ds_read_b64 v[2:3], v0
	s_andn2_b64 s[54:55], s[54:55], exec
	s_waitcnt lgkmcnt(0)
	v_cmp_ge_u64_e32 vcc, v[2:3], v[42:43]
	s_orn2_b64 vcc, vcc, exec
	s_branch .LBB2_361
.LBB2_366:                              ;   in Loop: Header=BB2_70 Depth=2
	s_or_b64 exec, exec, s[50:51]
	s_and_saveexec_b64 vcc, s[52:53]
	s_xor_b64 vcc, exec, vcc
	s_cbranch_execz .LBB2_368
; %bb.367:                              ;   in Loop: Header=BB2_70 Depth=2
	v_mov_b32_e32 v1, 1
	ds_write_b32 v0, v1
	s_trap 2
.LBB2_368:                              ;   in Loop: Header=BB2_70 Depth=2
	s_or_b64 exec, exec, s[48:49]
	;;#ASMSTART
	s_wakeup
	;;#ASMEND
.LBB2_369:                              ;   in Loop: Header=BB2_70 Depth=2
	s_or_b64 exec, exec, s[46:47]
.LBB2_370:                              ;   in Loop: Header=BB2_70 Depth=2
	s_andn2_saveexec_b64 vcc, s[44:45]
	s_cbranch_execz .LBB2_372
; %bb.371:                              ;   in Loop: Header=BB2_70 Depth=2
	s_waitcnt vmcnt(0) lgkmcnt(0)
	buffer_wbinvl1_vol
	s_barrier
.LBB2_372:                              ;   in Loop: Header=BB2_70 Depth=2
	s_or_b64 exec, exec, vcc
	s_or_b64 exec, exec, s[18:19]
	s_and_saveexec_b64 s[18:19], s[14:15]
	s_cbranch_execnz .LBB2_75
	s_branch .LBB2_76
.LBB2_373:                              ;   in Loop: Header=BB2_21 Depth=1
	v_accvgpr_write_b32 a46, v1
	v_accvgpr_write_b32 a45, v2
	v_pk_mov_b32 v[16:17], v[28:29], v[28:29] op_sel:[0,1]
	s_branch .LBB2_375
.LBB2_374:                              ;   in Loop: Header=BB2_21 Depth=1
	v_accvgpr_read_b32 v51, a5
	v_accvgpr_read_b32 v37, a25
	;; [unrolled: 1-line block ×3, first 2 shown]
	v_pk_mov_b32 v[16:17], v[28:29], v[28:29] op_sel:[0,1]
	v_accvgpr_read_b32 v50, a4
	v_accvgpr_read_b32 v36, a24
	;; [unrolled: 1-line block ×3, first 2 shown]
.LBB2_375:                              ;   in Loop: Header=BB2_21 Depth=1
	v_accvgpr_read_b32 v4, a45
	v_accvgpr_read_b32 v5, a46
; %bb.376:                              ;   in Loop: Header=BB2_21 Depth=1
	s_and_saveexec_b64 s[18:19], s[16:17]
	s_cbranch_execnz .LBB2_379
; %bb.377:                              ;   in Loop: Header=BB2_21 Depth=1
	s_or_b64 exec, exec, s[18:19]
	s_and_saveexec_b64 s[16:17], s[10:11]
	s_cbranch_execnz .LBB2_640
.LBB2_378:                              ;   in Loop: Header=BB2_21 Depth=1
	s_or_b64 exec, exec, s[16:17]
	s_and_saveexec_b64 s[16:17], s[14:15]
	s_cbranch_execz .LBB2_20
	s_branch .LBB2_658
.LBB2_379:                              ;   in Loop: Header=BB2_21 Depth=1
	v_accvgpr_read_b32 v0, a6
	v_accvgpr_read_b32 v1, a7
	flat_load_dword v8, v[0:1]
	s_waitcnt vmcnt(0) lgkmcnt(0)
	v_accvgpr_read_b32 v2, a12
	v_accvgpr_read_b32 v3, a13
	v_add_co_u32_e32 v2, vcc, v2, v4
	v_addc_co_u32_e32 v3, vcc, v3, v5, vcc
	v_accvgpr_read_b32 v0, a34
	v_add_co_u32_e32 v0, vcc, v0, v4
	v_and_b32_e32 v4, 7, v34
	v_accvgpr_read_b32 v1, a35
	v_mul_lo_u32 v4, v4, s60
	v_addc_co_u32_e32 v1, vcc, v1, v5, vcc
	v_ashrrev_i32_e32 v5, 31, v4
	v_accvgpr_write_b32 a36, v48
	v_lshlrev_b64 v[4:5], 4, v[4:5]
	v_accvgpr_read_b32 v10, a18
	v_accvgpr_write_b32 a37, v49
	v_accvgpr_read_b32 v11, a19
	v_add_co_u32_e32 v49, vcc, v10, v4
	v_addc_co_u32_e32 v44, vcc, v11, v5, vcc
	v_accvgpr_read_b32 v5, a27
	v_accvgpr_read_b32 v9, a26
	v_accvgpr_write_b32 a45, v17
	v_accvgpr_write_b32 a44, v16
	v_add_u32_e32 v48, 1, v34
	s_mov_b64 s[44:45], 0
	v_accvgpr_read_b32 v26, a2
	v_ashrrev_i32_e32 v4, 31, v8
	v_mul_lo_u32 v5, v5, v8
	v_mad_u64_u32 v[2:3], s[16:17], v9, v8, v[2:3]
	v_mul_lo_u32 v4, v9, v4
	v_add3_u32 v3, v5, v3, v4
	v_accvgpr_read_b32 v4, a32
	v_add_co_u32_e32 v18, vcc, v2, v4
	v_accvgpr_read_b32 v5, a3
	v_addc_co_u32_e32 v19, vcc, v3, v5, vcc
	s_branch .LBB2_381
.LBB2_380:                              ;   in Loop: Header=BB2_381 Depth=2
	v_add_co_u32_e32 v18, vcc, v18, v56
	v_addc_co_u32_e32 v19, vcc, v19, v57, vcc
	v_add_co_u32_e32 v0, vcc, v0, v56
	v_addc_co_u32_e32 v1, vcc, v1, v57, vcc
	v_sub_u32_e32 v60, v60, v56
	v_cmp_gt_i32_e32 vcc, 1, v60
	s_or_b64 s[44:45], vcc, s[44:45]
	v_add_u32_e32 v26, v26, v20
	s_andn2_b64 exec, exec, s[44:45]
	s_cbranch_execz .LBB2_639
.LBB2_381:                              ;   Parent Loop BB2_21 Depth=1
                                        ; =>  This Loop Header: Depth=2
                                        ;       Child Loop BB2_389 Depth 3
	v_and_b32_e32 v2, -4, v18
	v_mov_b32_e32 v3, v19
	global_load_dword v8, v[2:3], off glc slc
	v_min_u32_e32 v4, 8, v60
	v_and_b32_e32 v5, 3, v18
	v_add_co_u32_e32 v4, vcc, v5, v4
	v_addc_co_u32_e64 v5, s[16:17], 0, 0, vcc
	v_mov_b32_e32 v31, 0
	v_cmp_lt_u64_e32 vcc, 4, v[4:5]
	v_mov_b32_e32 v32, 0
	s_and_saveexec_b64 s[16:17], vcc
	s_cbranch_execz .LBB2_383
; %bb.382:                              ;   in Loop: Header=BB2_381 Depth=2
	global_load_dword v32, v[2:3], off offset:4 glc slc
.LBB2_383:                              ;   in Loop: Header=BB2_381 Depth=2
	s_or_b64 exec, exec, s[16:17]
	v_cmp_lt_u64_e32 vcc, 8, v[4:5]
	s_and_saveexec_b64 s[16:17], vcc
	s_cbranch_execz .LBB2_385
; %bb.384:                              ;   in Loop: Header=BB2_381 Depth=2
	global_load_dword v31, v[2:3], off offset:8 glc slc
.LBB2_385:                              ;   in Loop: Header=BB2_381 Depth=2
	s_or_b64 exec, exec, s[16:17]
	v_ashrrev_i32_e32 v27, 31, v26
	v_lshlrev_b64 v[2:3], 4, v[26:27]
	v_add_co_u32_e32 v28, vcc, v49, v2
	v_addc_co_u32_e32 v29, vcc, v44, v3, vcc
	global_load_dwordx4 v[2:5], v[28:29], off glc slc
	v_cmp_eq_u32_e32 vcc, 0, v24
	s_and_saveexec_b64 s[46:47], vcc
	s_cbranch_execz .LBB2_397
; %bb.386:                              ;   in Loop: Header=BB2_381 Depth=2
	s_waitcnt vmcnt(0)
	v_cmp_ne_u32_e32 vcc, v48, v3
	v_cmp_ne_u32_e64 s[16:17], v48, v5
	s_or_b64 s[16:17], vcc, s[16:17]
	v_mov_b32_e32 v24, 0
	s_and_saveexec_b64 s[48:49], s[16:17]
	s_cbranch_execz .LBB2_396
; %bb.387:                              ;   in Loop: Header=BB2_381 Depth=2
	s_mov_b32 s54, 1
	s_mov_b64 s[50:51], 0
	v_mov_b32_e32 v24, 0
	s_branch .LBB2_389
.LBB2_388:                              ;   in Loop: Header=BB2_389 Depth=3
	s_or_b64 exec, exec, s[52:53]
	s_and_b64 s[16:17], exec, s[16:17]
	s_or_b64 s[50:51], s[16:17], s[50:51]
	s_andn2_b64 exec, exec, s[50:51]
	s_cbranch_execz .LBB2_395
.LBB2_389:                              ;   Parent Loop BB2_21 Depth=1
                                        ;     Parent Loop BB2_381 Depth=2
                                        ; =>    This Inner Loop Header: Depth=3
	global_load_dwordx4 v[2:5], v[28:29], off glc slc
	s_add_i32 s54, s54, 1
	s_cmpk_lg_i32 s54, 0x2710
	s_cbranch_scc1 .LBB2_393
; %bb.390:                              ;   in Loop: Header=BB2_389 Depth=3
	s_trap 2
	ds_read_b64 v[10:11], v0
	s_waitcnt vmcnt(0) lgkmcnt(0)
	flat_load_dword v9, v[10:11] glc
	s_waitcnt vmcnt(0) lgkmcnt(0)
	buffer_invl2
	buffer_wbinvl1_vol
	v_cmp_ne_u32_e32 vcc, 0, v9
	s_and_saveexec_b64 s[16:17], vcc
	s_cbranch_execz .LBB2_392
; %bb.391:                              ;   in Loop: Header=BB2_389 Depth=3
	v_mov_b32_e32 v24, 1
	ds_write_b32 v0, v9
	s_trap 2
.LBB2_392:                              ;   in Loop: Header=BB2_389 Depth=3
	s_or_b64 exec, exec, s[16:17]
	s_mov_b32 s54, 0
	v_mov_b32_e32 v9, v24
	v_cmp_eq_u32_e32 vcc, 0, v9
	s_mov_b64 s[16:17], -1
	s_and_saveexec_b64 s[52:53], vcc
	s_cbranch_execz .LBB2_388
	s_branch .LBB2_394
.LBB2_393:                              ;   in Loop: Header=BB2_389 Depth=3
	v_mov_b32_e32 v9, 0
	v_cmp_eq_u32_e32 vcc, 0, v9
	s_mov_b64 s[16:17], -1
	s_and_saveexec_b64 s[52:53], vcc
	s_cbranch_execz .LBB2_388
.LBB2_394:                              ;   in Loop: Header=BB2_389 Depth=3
	s_waitcnt vmcnt(0)
	v_cmp_eq_u32_e32 vcc, v48, v3
	v_cmp_eq_u32_e64 s[16:17], v48, v5
	s_and_b64 s[16:17], vcc, s[16:17]
	s_orn2_b64 s[16:17], s[16:17], exec
	s_branch .LBB2_388
.LBB2_395:                              ;   in Loop: Header=BB2_381 Depth=2
	s_or_b64 exec, exec, s[50:51]
.LBB2_396:                              ;   in Loop: Header=BB2_381 Depth=2
	s_or_b64 exec, exec, s[48:49]
.LBB2_397:                              ;   in Loop: Header=BB2_381 Depth=2
	s_or_b64 exec, exec, s[46:47]
	s_waitcnt vmcnt(0)
	v_cmp_ne_u16_sdwa vcc, v2, v41 src0_sel:BYTE_0 src1_sel:DWORD
	v_mov_b32_e32 v9, 0
	v_mov_b32_e32 v10, 0
	s_and_saveexec_b64 s[16:17], vcc
	s_cbranch_execz .LBB2_405
; %bb.398:                              ;   in Loop: Header=BB2_381 Depth=2
	v_cmp_ne_u16_sdwa vcc, sext(v2), s63 src0_sel:BYTE_0 src1_sel:DWORD
	v_bfrev_b32_e32 v10, 1
	s_and_saveexec_b64 s[46:47], vcc
	s_cbranch_execz .LBB2_404
; %bb.399:                              ;   in Loop: Header=BB2_381 Depth=2
	v_and_b32_e32 v10, 0x7c, v2
	v_and_b32_e32 v11, 3, v2
	v_cmp_ne_u32_e32 vcc, s64, v10
                                        ; implicit-def: $vgpr10
	s_and_saveexec_b64 s[48:49], vcc
	s_xor_b64 s[48:49], exec, s[48:49]
	s_cbranch_execz .LBB2_401
; %bb.400:                              ;   in Loop: Header=BB2_381 Depth=2
	v_ffbh_u32_e32 v16, v11
	v_min_u32_e32 v16, 32, v16
	v_bfe_u32 v10, v2, 2, 5
	v_subrev_u32_e32 v17, 29, v16
	v_lshlrev_b64 v[22:23], v17, v[2:3]
	v_sub_u32_e32 v3, 30, v16
	v_cmp_eq_u32_e32 vcc, 0, v10
	v_and_b32_e32 v16, 3, v22
	v_cndmask_b32_e32 v3, v10, v3, vcc
	v_cndmask_b32_e32 v10, v11, v16, vcc
	v_lshlrev_b32_e32 v11, 24, v2
	v_lshl_add_u32 v3, v3, 23, v25
	v_and_or_b32 v3, v11, s65, v3
	v_lshl_or_b32 v10, v10, 21, v3
                                        ; implicit-def: $vgpr11
.LBB2_401:                              ;   in Loop: Header=BB2_381 Depth=2
	s_andn2_saveexec_b64 s[48:49], s[48:49]
; %bb.402:                              ;   in Loop: Header=BB2_381 Depth=2
	v_cmp_gt_i16_sdwa vcc, sext(v2), v30 src0_sel:BYTE_0 src1_sel:DWORD
	v_cndmask_b32_e32 v3, v47, v6, vcc
	v_cmp_eq_u32_e32 vcc, 0, v11
	v_cndmask_b32_e32 v10, v7, v3, vcc
; %bb.403:                              ;   in Loop: Header=BB2_381 Depth=2
	s_or_b64 exec, exec, s[48:49]
.LBB2_404:                              ;   in Loop: Header=BB2_381 Depth=2
	s_or_b64 exec, exec, s[46:47]
.LBB2_405:                              ;   in Loop: Header=BB2_381 Depth=2
	s_or_b64 exec, exec, s[16:17]
	v_lshlrev_b32_e32 v27, 3, v18
	v_alignbit_b32 v40, v32, v8, v27
	v_cmp_ne_u16_sdwa vcc, v40, v41 src0_sel:BYTE_0 src1_sel:DWORD
	s_and_saveexec_b64 s[16:17], vcc
	s_cbranch_execz .LBB2_413
; %bb.406:                              ;   in Loop: Header=BB2_381 Depth=2
	v_cmp_ne_u16_sdwa vcc, sext(v40), s63 src0_sel:BYTE_0 src1_sel:DWORD
	v_bfrev_b32_e32 v9, 1
	s_and_saveexec_b64 s[46:47], vcc
	s_cbranch_execz .LBB2_412
; %bb.407:                              ;   in Loop: Header=BB2_381 Depth=2
	v_and_b32_e32 v8, 0x7c, v40
	v_and_b32_e32 v3, 3, v40
	v_cmp_ne_u32_e32 vcc, s64, v8
                                        ; implicit-def: $vgpr9
	s_and_saveexec_b64 s[48:49], vcc
	s_xor_b64 s[48:49], exec, s[48:49]
	s_cbranch_execz .LBB2_409
; %bb.408:                              ;   in Loop: Header=BB2_381 Depth=2
	v_ffbh_u32_e32 v8, v3
	v_min_u32_e32 v16, 32, v8
	v_subrev_u32_e32 v8, 29, v16
	v_bfe_u32 v11, v40, 2, 5
	v_lshlrev_b64 v[8:9], v8, v[40:41]
	v_sub_u32_e32 v9, 30, v16
	v_cmp_eq_u32_e32 vcc, 0, v11
	v_and_b32_e32 v8, 3, v8
	v_cndmask_b32_e32 v9, v11, v9, vcc
	v_cndmask_b32_e32 v3, v3, v8, vcc
	v_lshlrev_b32_e32 v8, 24, v40
	v_lshl_add_u32 v9, v9, 23, v25
	v_and_or_b32 v8, v8, s65, v9
	v_lshl_or_b32 v9, v3, 21, v8
                                        ; implicit-def: $vgpr3
.LBB2_409:                              ;   in Loop: Header=BB2_381 Depth=2
	s_andn2_saveexec_b64 s[48:49], s[48:49]
; %bb.410:                              ;   in Loop: Header=BB2_381 Depth=2
	v_cmp_gt_i16_sdwa vcc, sext(v40), v30 src0_sel:BYTE_0 src1_sel:DWORD
	v_cndmask_b32_e32 v8, v47, v6, vcc
	v_cmp_eq_u32_e32 vcc, 0, v3
	v_cndmask_b32_e32 v9, v7, v8, vcc
; %bb.411:                              ;   in Loop: Header=BB2_381 Depth=2
	s_or_b64 exec, exec, s[48:49]
.LBB2_412:                              ;   in Loop: Header=BB2_381 Depth=2
	s_or_b64 exec, exec, s[46:47]
.LBB2_413:                              ;   in Loop: Header=BB2_381 Depth=2
	s_or_b64 exec, exec, s[16:17]
	v_mul_f32_e32 v9, v10, v9
	v_and_b32_sdwa v3, v9, s66 dst_sel:DWORD dst_unused:UNUSED_PAD src0_sel:BYTE_3 src1_sel:DWORD
	v_and_b32_e32 v22, 0x7f800000, v9
	v_mov_b32_e32 v23, v41
	v_and_b32_e32 v10, 0x7fffff, v9
	v_mov_b32_e32 v11, v41
	v_or_b32_e32 v8, 0x7b, v3
	v_cmp_ne_u64_e32 vcc, s[38:39], v[22:23]
	s_and_saveexec_b64 s[16:17], vcc
	s_xor_b64 s[46:47], exec, s[16:17]
	s_cbranch_execz .LBB2_423
; %bb.414:                              ;   in Loop: Header=BB2_381 Depth=2
	v_and_b32_e32 v22, 0x7fffffff, v9
	v_mov_b32_e32 v23, v41
	v_cmp_gt_u64_e32 vcc, s[40:41], v[22:23]
	s_and_saveexec_b64 s[48:49], vcc
	s_cbranch_execz .LBB2_422
; %bb.415:                              ;   in Loop: Header=BB2_381 Depth=2
	v_cmp_ne_u32_e32 vcc, 0, v9
	v_mov_b32_e32 v8, 0
	s_and_saveexec_b64 s[50:51], vcc
	s_cbranch_execz .LBB2_421
; %bb.416:                              ;   in Loop: Header=BB2_381 Depth=2
	v_bfe_u32 v8, v9, 23, 8
	v_sub_u32_e32 v16, 0x71, v8
	v_cmp_gt_u32_e32 vcc, s67, v8
	v_cndmask_b32_e32 v16, 0, v16, vcc
	v_cmp_eq_u32_e32 vcc, 0, v8
	v_cndmask_b32_e32 v16, v16, v55, vcc
	v_add_u32_e32 v9, 0xffffff81, v8
	v_add_u32_e32 v8, 21, v16
	v_or_b32_e32 v17, 0x800000, v10
	v_cndmask_b32_e32 v21, v9, v54, vcc
	v_lshlrev_b64 v[8:9], v8, -1
	v_cndmask_b32_e32 v10, v17, v10, vcc
	v_not_b32_e32 v8, v8
	v_and_b32_e32 v22, v10, v8
	v_add_u32_e32 v8, 20, v16
	v_lshrrev_b64 v[10:11], v16, v[10:11]
	v_not_b32_e32 v9, v9
	v_lshlrev_b64 v[28:29], v8, 1
	v_lshrrev_b32_e32 v8, 23, v10
	v_and_b32_e32 v23, 0, v9
	v_add3_u32 v21, v16, v21, v8
	v_bfe_u32 v8, v10, 21, 1
	v_add_u32_e32 v8, -1, v8
	v_cmp_eq_u64_e32 vcc, v[22:23], v[28:29]
	v_cndmask_b32_e32 v8, 0, v8, vcc
	v_add_u32_e32 v8, v8, v10
	v_and_b32_e32 v8, 0x1fffff, v8
	v_add_co_u32_e32 v10, vcc, v8, v10
	v_add_u32_e32 v9, 14, v21
	v_addc_co_u32_e32 v11, vcc, 0, v11, vcc
	v_cmp_ne_u32_e32 vcc, 0, v9
                                        ; implicit-def: $vgpr8
	s_and_saveexec_b64 s[16:17], vcc
	s_xor_b64 s[16:17], exec, s[16:17]
; %bb.417:                              ;   in Loop: Header=BB2_381 Depth=2
	v_add_u32_e32 v8, 15, v21
	v_cmp_lt_u64_e32 vcc, s[42:43], v[10:11]
	v_cndmask_b32_e32 v8, v9, v8, vcc
	v_cndmask_b32_e64 v9, 0, 1, vcc
	v_lshrrev_b64 v[10:11], v9, v[10:11]
; %bb.418:                              ;   in Loop: Header=BB2_381 Depth=2
	s_andn2_saveexec_b64 s[16:17], s[16:17]
; %bb.419:                              ;   in Loop: Header=BB2_381 Depth=2
	v_bfe_u32 v8, v10, 23, 1
; %bb.420:                              ;   in Loop: Header=BB2_381 Depth=2
	s_or_b64 exec, exec, s[16:17]
	v_lshrrev_b64 v[10:11], 21, v[10:11]
	v_cmp_gt_i32_e32 vcc, 32, v8
	v_cndmask_b32_e32 v11, 0, v11, vcc
	v_cndmask_b32_e32 v10, 3, v10, vcc
	v_cmp_eq_u32_e32 vcc, 0, v8
	v_min_i32_e32 v8, 31, v8
	v_cmp_eq_u64_e64 s[16:17], 0, v[10:11]
	v_lshlrev_b32_e32 v8, 2, v8
	v_and_or_b32 v8, v10, 3, v8
	s_and_b64 s[16:17], vcc, s[16:17]
	v_cndmask_b32_e64 v8, v8, 0, s[16:17]
	v_or_b32_e32 v8, v8, v3
.LBB2_421:                              ;   in Loop: Header=BB2_381 Depth=2
	s_or_b64 exec, exec, s[50:51]
.LBB2_422:                              ;   in Loop: Header=BB2_381 Depth=2
	s_or_b64 exec, exec, s[48:49]
                                        ; implicit-def: $vgpr9
                                        ; implicit-def: $vgpr10_vgpr11
.LBB2_423:                              ;   in Loop: Header=BB2_381 Depth=2
	s_andn2_saveexec_b64 s[16:17], s[46:47]
; %bb.424:                              ;   in Loop: Header=BB2_381 Depth=2
	v_or_b32_sdwa v3, v9, s68 dst_sel:DWORD dst_unused:UNUSED_PAD src0_sel:BYTE_3 src1_sel:DWORD
	v_cmp_eq_u64_e32 vcc, 0, v[10:11]
	v_cndmask_b32_e32 v8, v3, v8, vcc
; %bb.425:                              ;   in Loop: Header=BB2_381 Depth=2
	s_or_b64 exec, exec, s[16:17]
	v_lshrrev_b16_e32 v10, 8, v2
	v_cmp_ne_u16_e32 vcc, 0, v10
	v_mov_b32_e32 v3, 0
	v_mov_b32_e32 v9, 0
	s_and_saveexec_b64 s[16:17], vcc
	s_cbranch_execz .LBB2_433
; %bb.426:                              ;   in Loop: Header=BB2_381 Depth=2
	v_cmp_ne_u16_e32 vcc, s66, v10
	v_bfrev_b32_e32 v9, 1
	s_and_saveexec_b64 s[46:47], vcc
	s_cbranch_execz .LBB2_432
; %bb.427:                              ;   in Loop: Header=BB2_381 Depth=2
	v_and_b32_e32 v9, 0x7c, v10
	v_and_b32_e32 v21, 3, v10
	v_cmp_ne_u32_e32 vcc, s64, v9
                                        ; implicit-def: $vgpr9
	s_and_saveexec_b64 s[48:49], vcc
	s_xor_b64 s[48:49], exec, s[48:49]
	s_cbranch_execz .LBB2_429
; %bb.428:                              ;   in Loop: Header=BB2_381 Depth=2
	v_ffbh_u32_e32 v16, v21
	v_min_u32_e32 v16, 32, v16
	v_mov_b32_e32 v11, v41
	v_subrev_u32_e32 v17, 29, v16
	v_bfe_u32 v9, v10, 2, 5
	v_lshlrev_b64 v[10:11], v17, v[10:11]
	v_sub_u32_e32 v11, 30, v16
	v_cmp_eq_u32_e32 vcc, 0, v9
	v_cndmask_b32_e32 v9, v9, v11, vcc
	v_and_b32_e32 v10, 3, v10
	v_lshlrev_b32_e32 v11, 16, v2
	v_lshl_add_u32 v9, v9, 23, v25
	v_cndmask_b32_e32 v10, v21, v10, vcc
	v_and_or_b32 v9, v11, s65, v9
	v_lshl_or_b32 v9, v10, 21, v9
                                        ; implicit-def: $vgpr21
.LBB2_429:                              ;   in Loop: Header=BB2_381 Depth=2
	s_andn2_saveexec_b64 s[48:49], s[48:49]
; %bb.430:                              ;   in Loop: Header=BB2_381 Depth=2
	v_cmp_lt_i16_e32 vcc, -1, v2
	v_cndmask_b32_e32 v9, v47, v6, vcc
	v_cmp_eq_u32_e32 vcc, 0, v21
	v_cndmask_b32_e32 v9, v7, v9, vcc
; %bb.431:                              ;   in Loop: Header=BB2_381 Depth=2
	s_or_b64 exec, exec, s[48:49]
.LBB2_432:                              ;   in Loop: Header=BB2_381 Depth=2
	s_or_b64 exec, exec, s[46:47]
.LBB2_433:                              ;   in Loop: Header=BB2_381 Depth=2
	s_or_b64 exec, exec, s[16:17]
	v_lshrrev_b16_e32 v10, 8, v40
	v_cmp_ne_u16_e32 vcc, 0, v10
	s_and_saveexec_b64 s[16:17], vcc
	s_cbranch_execz .LBB2_441
; %bb.434:                              ;   in Loop: Header=BB2_381 Depth=2
	v_cmp_ne_u16_e32 vcc, s66, v10
	v_bfrev_b32_e32 v3, 1
	s_and_saveexec_b64 s[46:47], vcc
	s_cbranch_execz .LBB2_440
; %bb.435:                              ;   in Loop: Header=BB2_381 Depth=2
	v_and_b32_e32 v3, 0x7c, v10
	v_and_b32_e32 v21, 3, v10
	v_cmp_ne_u32_e32 vcc, s64, v3
                                        ; implicit-def: $vgpr3
	s_and_saveexec_b64 s[48:49], vcc
	s_xor_b64 s[48:49], exec, s[48:49]
	s_cbranch_execz .LBB2_437
; %bb.436:                              ;   in Loop: Header=BB2_381 Depth=2
	v_ffbh_u32_e32 v16, v21
	v_min_u32_e32 v16, 32, v16
	v_mov_b32_e32 v11, v41
	v_subrev_u32_e32 v17, 29, v16
	v_bfe_u32 v3, v10, 2, 5
	v_lshlrev_b64 v[10:11], v17, v[10:11]
	v_sub_u32_e32 v11, 30, v16
	v_cmp_eq_u32_e32 vcc, 0, v3
	v_cndmask_b32_e32 v3, v3, v11, vcc
	v_and_b32_e32 v10, 3, v10
	v_lshlrev_b32_e32 v11, 16, v40
	v_lshl_add_u32 v3, v3, 23, v25
	v_cndmask_b32_e32 v10, v21, v10, vcc
	v_and_or_b32 v3, v11, s65, v3
	v_lshl_or_b32 v3, v10, 21, v3
                                        ; implicit-def: $vgpr21
.LBB2_437:                              ;   in Loop: Header=BB2_381 Depth=2
	s_andn2_saveexec_b64 s[48:49], s[48:49]
; %bb.438:                              ;   in Loop: Header=BB2_381 Depth=2
	v_cmp_lt_i16_e32 vcc, -1, v40
	v_cndmask_b32_e32 v3, v47, v6, vcc
	v_cmp_eq_u32_e32 vcc, 0, v21
	v_cndmask_b32_e32 v3, v7, v3, vcc
; %bb.439:                              ;   in Loop: Header=BB2_381 Depth=2
	s_or_b64 exec, exec, s[48:49]
.LBB2_440:                              ;   in Loop: Header=BB2_381 Depth=2
	s_or_b64 exec, exec, s[46:47]
.LBB2_441:                              ;   in Loop: Header=BB2_381 Depth=2
	s_or_b64 exec, exec, s[16:17]
	v_mul_f32_e32 v21, v9, v3
	v_and_b32_sdwa v3, v21, s66 dst_sel:DWORD dst_unused:UNUSED_PAD src0_sel:BYTE_3 src1_sel:DWORD
	v_and_b32_e32 v22, 0x7f800000, v21
	v_mov_b32_e32 v23, v41
	v_and_b32_e32 v10, 0x7fffff, v21
	v_mov_b32_e32 v11, v41
	v_or_b32_e32 v9, 0x7b, v3
	v_cmp_ne_u64_e32 vcc, s[38:39], v[22:23]
	s_and_saveexec_b64 s[16:17], vcc
	s_xor_b64 s[46:47], exec, s[16:17]
	s_cbranch_execz .LBB2_451
; %bb.442:                              ;   in Loop: Header=BB2_381 Depth=2
	v_and_b32_e32 v22, 0x7fffffff, v21
	v_mov_b32_e32 v23, v41
	v_cmp_gt_u64_e32 vcc, s[40:41], v[22:23]
	s_and_saveexec_b64 s[48:49], vcc
	s_cbranch_execz .LBB2_450
; %bb.443:                              ;   in Loop: Header=BB2_381 Depth=2
	v_cmp_ne_u32_e32 vcc, 0, v21
	v_mov_b32_e32 v9, 0
	s_and_saveexec_b64 s[50:51], vcc
	s_cbranch_execz .LBB2_449
; %bb.444:                              ;   in Loop: Header=BB2_381 Depth=2
	v_bfe_u32 v9, v21, 23, 8
	v_sub_u32_e32 v17, 0x71, v9
	v_cmp_gt_u32_e32 vcc, s67, v9
	v_cndmask_b32_e32 v17, 0, v17, vcc
	v_cmp_eq_u32_e32 vcc, 0, v9
	v_add_u32_e32 v16, 0xffffff81, v9
	v_cndmask_b32_e32 v33, v17, v55, vcc
	v_cndmask_b32_e32 v9, v16, v54, vcc
	v_add_u32_e32 v16, 21, v33
	v_or_b32_e32 v21, 0x800000, v10
	v_lshlrev_b64 v[22:23], v16, -1
	v_cndmask_b32_e32 v10, v21, v10, vcc
	v_not_b32_e32 v17, v22
	v_not_b32_e32 v16, v23
	v_and_b32_e32 v28, v10, v17
	v_lshrrev_b64 v[10:11], v33, v[10:11]
	v_and_b32_e32 v29, 0, v16
	v_add_u32_e32 v16, 20, v33
	v_lshrrev_b32_e32 v21, 23, v10
	v_lshlrev_b64 v[16:17], v16, 1
	v_add3_u32 v22, v33, v9, v21
	v_bfe_u32 v9, v10, 21, 1
	v_add_u32_e32 v9, -1, v9
	v_cmp_eq_u64_e32 vcc, v[28:29], v[16:17]
	v_cndmask_b32_e32 v9, 0, v9, vcc
	v_add_u32_e32 v9, v9, v10
	v_and_b32_e32 v9, 0x1fffff, v9
	v_add_co_u32_e32 v10, vcc, v9, v10
	v_add_u32_e32 v21, 14, v22
	v_addc_co_u32_e32 v11, vcc, 0, v11, vcc
	v_cmp_ne_u32_e32 vcc, 0, v21
                                        ; implicit-def: $vgpr9
	s_and_saveexec_b64 s[16:17], vcc
	s_xor_b64 s[16:17], exec, s[16:17]
; %bb.445:                              ;   in Loop: Header=BB2_381 Depth=2
	v_cmp_lt_u64_e32 vcc, s[42:43], v[10:11]
	v_add_u32_e32 v9, 15, v22
	v_cndmask_b32_e64 v16, 0, 1, vcc
	v_cndmask_b32_e32 v9, v21, v9, vcc
	v_lshrrev_b64 v[10:11], v16, v[10:11]
; %bb.446:                              ;   in Loop: Header=BB2_381 Depth=2
	s_andn2_saveexec_b64 s[16:17], s[16:17]
; %bb.447:                              ;   in Loop: Header=BB2_381 Depth=2
	v_bfe_u32 v9, v10, 23, 1
; %bb.448:                              ;   in Loop: Header=BB2_381 Depth=2
	s_or_b64 exec, exec, s[16:17]
	v_lshrrev_b64 v[10:11], 21, v[10:11]
	v_cmp_gt_i32_e32 vcc, 32, v9
	v_cndmask_b32_e32 v11, 0, v11, vcc
	v_cndmask_b32_e32 v10, 3, v10, vcc
	v_cmp_eq_u32_e32 vcc, 0, v9
	v_min_i32_e32 v9, 31, v9
	v_cmp_eq_u64_e64 s[16:17], 0, v[10:11]
	v_lshlrev_b32_e32 v9, 2, v9
	v_and_or_b32 v9, v10, 3, v9
	s_and_b64 s[16:17], vcc, s[16:17]
	v_cndmask_b32_e64 v9, v9, 0, s[16:17]
	v_or_b32_e32 v9, v9, v3
.LBB2_449:                              ;   in Loop: Header=BB2_381 Depth=2
	s_or_b64 exec, exec, s[50:51]
.LBB2_450:                              ;   in Loop: Header=BB2_381 Depth=2
	s_or_b64 exec, exec, s[48:49]
                                        ; implicit-def: $vgpr21
                                        ; implicit-def: $vgpr10_vgpr11
.LBB2_451:                              ;   in Loop: Header=BB2_381 Depth=2
	s_andn2_saveexec_b64 s[16:17], s[46:47]
; %bb.452:                              ;   in Loop: Header=BB2_381 Depth=2
	v_or_b32_sdwa v3, v21, s68 dst_sel:DWORD dst_unused:UNUSED_PAD src0_sel:BYTE_3 src1_sel:DWORD
	v_cmp_eq_u64_e32 vcc, 0, v[10:11]
	v_cndmask_b32_e32 v9, v3, v9, vcc
; %bb.453:                              ;   in Loop: Header=BB2_381 Depth=2
	s_or_b64 exec, exec, s[16:17]
	v_lshrrev_b32_e32 v10, 16, v2
	v_cmp_ne_u16_sdwa vcc, v10, v41 src0_sel:BYTE_0 src1_sel:DWORD
	v_mov_b32_e32 v11, 0
	v_mov_b32_e32 v3, 0
	s_and_saveexec_b64 s[16:17], vcc
	s_cbranch_execz .LBB2_461
; %bb.454:                              ;   in Loop: Header=BB2_381 Depth=2
	v_cmp_ne_u16_sdwa vcc, v10, s66 src0_sel:BYTE_0 src1_sel:DWORD
	v_bfrev_b32_e32 v3, 1
	s_and_saveexec_b64 s[46:47], vcc
	s_cbranch_execz .LBB2_460
; %bb.455:                              ;   in Loop: Header=BB2_381 Depth=2
	v_and_b32_e32 v3, 0x7c0000, v2
	v_bfe_u32 v21, v2, 16, 2
	v_cmp_ne_u32_e32 vcc, s69, v3
                                        ; implicit-def: $vgpr3
	s_and_saveexec_b64 s[48:49], vcc
	s_xor_b64 s[48:49], exec, s[48:49]
	s_cbranch_execz .LBB2_457
; %bb.456:                              ;   in Loop: Header=BB2_381 Depth=2
	v_ffbh_u32_e32 v16, v21
	v_min_u32_e32 v22, 32, v16
	v_bfe_u32 v3, v2, 18, 5
	v_subrev_u32_e32 v16, 29, v22
	v_lshlrev_b64 v[16:17], v16, v[10:11]
	v_sub_u32_e32 v10, 30, v22
	v_cmp_eq_u32_e32 vcc, 0, v3
	v_and_b32_e32 v16, 3, v16
	v_cndmask_b32_e32 v3, v3, v10, vcc
	v_cndmask_b32_e32 v10, v21, v16, vcc
	v_lshlrev_b32_e32 v16, 8, v2
	v_lshl_add_u32 v3, v3, 23, v25
	v_and_or_b32 v3, v16, s65, v3
	v_lshl_or_b32 v3, v10, 21, v3
                                        ; implicit-def: $vgpr21
                                        ; implicit-def: $vgpr10
.LBB2_457:                              ;   in Loop: Header=BB2_381 Depth=2
	s_andn2_saveexec_b64 s[48:49], s[48:49]
; %bb.458:                              ;   in Loop: Header=BB2_381 Depth=2
	v_cmp_gt_i16_sdwa vcc, sext(v10), v30 src0_sel:BYTE_0 src1_sel:DWORD
	v_cndmask_b32_e32 v3, v47, v6, vcc
	v_cmp_eq_u32_e32 vcc, 0, v21
	v_cndmask_b32_e32 v3, v7, v3, vcc
; %bb.459:                              ;   in Loop: Header=BB2_381 Depth=2
	s_or_b64 exec, exec, s[48:49]
.LBB2_460:                              ;   in Loop: Header=BB2_381 Depth=2
	s_or_b64 exec, exec, s[46:47]
.LBB2_461:                              ;   in Loop: Header=BB2_381 Depth=2
	s_or_b64 exec, exec, s[16:17]
	v_and_b32_sdwa v21, v40, s62 dst_sel:DWORD dst_unused:UNUSED_PAD src0_sel:WORD_1 src1_sel:DWORD
	v_lshrrev_b32_e32 v10, 16, v40
	v_cmp_ne_u16_e32 vcc, 0, v21
	s_and_saveexec_b64 s[16:17], vcc
	s_cbranch_execz .LBB2_469
; %bb.462:                              ;   in Loop: Header=BB2_381 Depth=2
	v_cmp_ne_u16_e32 vcc, s66, v21
	v_bfrev_b32_e32 v11, 1
	s_and_saveexec_b64 s[46:47], vcc
	s_cbranch_execz .LBB2_468
; %bb.463:                              ;   in Loop: Header=BB2_381 Depth=2
	v_and_b32_e32 v11, 0x7c0000, v40
	v_bfe_u32 v21, v40, 16, 2
	v_cmp_ne_u32_e32 vcc, s69, v11
                                        ; implicit-def: $vgpr11
	s_and_saveexec_b64 s[48:49], vcc
	s_xor_b64 s[48:49], exec, s[48:49]
	s_cbranch_execz .LBB2_465
; %bb.464:                              ;   in Loop: Header=BB2_381 Depth=2
	v_ffbh_u32_e32 v11, v21
	v_min_u32_e32 v17, 32, v11
	v_lshrrev_b32_e32 v10, 16, v40
	v_subrev_u32_e32 v11, 29, v17
	v_bfe_u32 v16, v40, 18, 5
	v_lshlrev_b64 v[10:11], v11, v[10:11]
	v_sub_u32_e32 v11, 30, v17
	v_cmp_eq_u32_e32 vcc, 0, v16
	v_cndmask_b32_e32 v11, v16, v11, vcc
	v_and_b32_e32 v10, 3, v10
	v_lshlrev_b32_e32 v16, 8, v40
	v_lshl_add_u32 v11, v11, 23, v25
	v_cndmask_b32_e32 v10, v21, v10, vcc
	v_and_or_b32 v11, v16, s65, v11
	v_lshl_or_b32 v11, v10, 21, v11
                                        ; implicit-def: $vgpr21
                                        ; implicit-def: $vgpr10
.LBB2_465:                              ;   in Loop: Header=BB2_381 Depth=2
	s_andn2_saveexec_b64 s[48:49], s[48:49]
; %bb.466:                              ;   in Loop: Header=BB2_381 Depth=2
	v_cmp_gt_i16_sdwa vcc, sext(v10), v30 src0_sel:BYTE_0 src1_sel:DWORD
	v_cndmask_b32_e32 v10, v47, v6, vcc
	v_cmp_eq_u32_e32 vcc, 0, v21
	v_cndmask_b32_e32 v11, v7, v10, vcc
; %bb.467:                              ;   in Loop: Header=BB2_381 Depth=2
	s_or_b64 exec, exec, s[48:49]
.LBB2_468:                              ;   in Loop: Header=BB2_381 Depth=2
	s_or_b64 exec, exec, s[46:47]
.LBB2_469:                              ;   in Loop: Header=BB2_381 Depth=2
	s_or_b64 exec, exec, s[16:17]
	v_mul_f32_e32 v28, v3, v11
	v_and_b32_sdwa v3, v28, s66 dst_sel:DWORD dst_unused:UNUSED_PAD src0_sel:BYTE_3 src1_sel:DWORD
	v_and_b32_e32 v16, 0x7f800000, v28
	v_mov_b32_e32 v17, v41
	v_and_b32_e32 v10, 0x7fffff, v28
	v_mov_b32_e32 v11, v41
	v_or_b32_e32 v21, 0x7b, v3
	v_cmp_ne_u64_e32 vcc, s[38:39], v[16:17]
	s_and_saveexec_b64 s[16:17], vcc
	s_xor_b64 s[46:47], exec, s[16:17]
	s_cbranch_execz .LBB2_479
; %bb.470:                              ;   in Loop: Header=BB2_381 Depth=2
	v_and_b32_e32 v16, 0x7fffffff, v28
	v_mov_b32_e32 v17, v41
	v_cmp_gt_u64_e32 vcc, s[40:41], v[16:17]
	s_and_saveexec_b64 s[48:49], vcc
	s_cbranch_execz .LBB2_478
; %bb.471:                              ;   in Loop: Header=BB2_381 Depth=2
	v_cmp_ne_u32_e32 vcc, 0, v28
	v_mov_b32_e32 v21, 0
	s_and_saveexec_b64 s[50:51], vcc
	s_cbranch_execz .LBB2_477
; %bb.472:                              ;   in Loop: Header=BB2_381 Depth=2
	v_bfe_u32 v16, v28, 23, 8
	v_sub_u32_e32 v21, 0x71, v16
	v_cmp_gt_u32_e32 vcc, s67, v16
	v_cndmask_b32_e32 v21, 0, v21, vcc
	v_cmp_eq_u32_e32 vcc, 0, v16
	v_cndmask_b32_e32 v21, v21, v55, vcc
	v_add_u32_e32 v17, 0xffffff81, v16
	v_add_u32_e32 v16, 21, v21
	v_or_b32_e32 v22, 0x800000, v10
	v_cndmask_b32_e32 v23, v17, v54, vcc
	v_lshlrev_b64 v[16:17], v16, -1
	v_cndmask_b32_e32 v10, v22, v10, vcc
	v_not_b32_e32 v16, v16
	v_and_b32_e32 v16, v10, v16
	v_add_u32_e32 v22, 20, v21
	v_lshrrev_b64 v[10:11], v21, v[10:11]
	v_not_b32_e32 v17, v17
	v_lshlrev_b64 v[28:29], v22, 1
	v_lshrrev_b32_e32 v22, 23, v10
	v_and_b32_e32 v17, 0, v17
	v_add3_u32 v23, v21, v23, v22
	v_bfe_u32 v21, v10, 21, 1
	v_add_u32_e32 v21, -1, v21
	v_cmp_eq_u64_e32 vcc, v[16:17], v[28:29]
	v_cndmask_b32_e32 v16, 0, v21, vcc
	v_add_u32_e32 v16, v16, v10
	v_and_b32_e32 v16, 0x1fffff, v16
	v_add_co_u32_e32 v10, vcc, v16, v10
	v_add_u32_e32 v22, 14, v23
	v_addc_co_u32_e32 v11, vcc, 0, v11, vcc
	v_cmp_ne_u32_e32 vcc, 0, v22
                                        ; implicit-def: $vgpr21
	s_and_saveexec_b64 s[16:17], vcc
	s_xor_b64 s[16:17], exec, s[16:17]
; %bb.473:                              ;   in Loop: Header=BB2_381 Depth=2
	v_add_u32_e32 v16, 15, v23
	v_cmp_lt_u64_e32 vcc, s[42:43], v[10:11]
	v_cndmask_b32_e32 v21, v22, v16, vcc
	v_cndmask_b32_e64 v16, 0, 1, vcc
	v_lshrrev_b64 v[10:11], v16, v[10:11]
; %bb.474:                              ;   in Loop: Header=BB2_381 Depth=2
	s_andn2_saveexec_b64 s[16:17], s[16:17]
; %bb.475:                              ;   in Loop: Header=BB2_381 Depth=2
	v_bfe_u32 v21, v10, 23, 1
; %bb.476:                              ;   in Loop: Header=BB2_381 Depth=2
	s_or_b64 exec, exec, s[16:17]
	v_lshrrev_b64 v[10:11], 21, v[10:11]
	v_cmp_gt_i32_e32 vcc, 32, v21
	v_cndmask_b32_e32 v11, 0, v11, vcc
	v_cndmask_b32_e32 v10, 3, v10, vcc
	v_cmp_eq_u64_e64 s[16:17], 0, v[10:11]
	v_min_i32_e32 v11, 31, v21
	v_cmp_eq_u32_e32 vcc, 0, v21
	v_lshlrev_b32_e32 v11, 2, v11
	v_and_or_b32 v10, v10, 3, v11
	s_and_b64 s[16:17], vcc, s[16:17]
	v_cndmask_b32_e64 v10, v10, 0, s[16:17]
	v_or_b32_e32 v21, v10, v3
.LBB2_477:                              ;   in Loop: Header=BB2_381 Depth=2
	s_or_b64 exec, exec, s[50:51]
.LBB2_478:                              ;   in Loop: Header=BB2_381 Depth=2
	s_or_b64 exec, exec, s[48:49]
                                        ; implicit-def: $vgpr28
                                        ; implicit-def: $vgpr10_vgpr11
.LBB2_479:                              ;   in Loop: Header=BB2_381 Depth=2
	s_andn2_saveexec_b64 s[16:17], s[46:47]
; %bb.480:                              ;   in Loop: Header=BB2_381 Depth=2
	v_or_b32_sdwa v3, v28, s68 dst_sel:DWORD dst_unused:UNUSED_PAD src0_sel:BYTE_3 src1_sel:DWORD
	v_cmp_eq_u64_e32 vcc, 0, v[10:11]
	v_cndmask_b32_e32 v21, v3, v21, vcc
; %bb.481:                              ;   in Loop: Header=BB2_381 Depth=2
	s_or_b64 exec, exec, s[16:17]
	v_cmp_lt_u32_e32 vcc, s37, v2
	v_mov_b32_e32 v3, 0
	v_mov_b32_e32 v11, 0
	s_and_saveexec_b64 s[16:17], vcc
	s_cbranch_execz .LBB2_489
; %bb.482:                              ;   in Loop: Header=BB2_381 Depth=2
	v_lshrrev_b32_e32 v10, 24, v2
	v_cmp_ne_u32_e32 vcc, s66, v10
	v_bfrev_b32_e32 v11, 1
	s_and_saveexec_b64 s[46:47], vcc
	s_cbranch_execz .LBB2_488
; %bb.483:                              ;   in Loop: Header=BB2_381 Depth=2
	v_and_b32_e32 v11, 0x7c000000, v2
	v_bfe_u32 v28, v2, 24, 2
	v_cmp_ne_u32_e32 vcc, s70, v11
                                        ; implicit-def: $vgpr11
	s_and_saveexec_b64 s[48:49], vcc
	s_xor_b64 s[48:49], exec, s[48:49]
	s_cbranch_execz .LBB2_485
; %bb.484:                              ;   in Loop: Header=BB2_381 Depth=2
	v_ffbh_u32_e32 v11, v28
	v_min_u32_e32 v17, 32, v11
	v_subrev_u32_e32 v11, 29, v17
	v_bfe_u32 v16, v2, 26, 5
	v_lshlrev_b64 v[10:11], v11, v[10:11]
	v_sub_u32_e32 v11, 30, v17
	v_cmp_eq_u32_e32 vcc, 0, v16
	v_cndmask_b32_e32 v11, v16, v11, vcc
	v_and_b32_e32 v10, 3, v10
	v_lshl_add_u32 v11, v11, 23, v25
	v_cndmask_b32_e32 v10, v28, v10, vcc
	v_and_or_b32 v2, v2, s65, v11
	v_lshl_or_b32 v11, v10, 21, v2
                                        ; implicit-def: $vgpr28
.LBB2_485:                              ;   in Loop: Header=BB2_381 Depth=2
	s_andn2_saveexec_b64 s[48:49], s[48:49]
; %bb.486:                              ;   in Loop: Header=BB2_381 Depth=2
	v_cmp_lt_i32_e32 vcc, -1, v2
	v_cndmask_b32_e32 v2, v47, v6, vcc
	v_cmp_eq_u32_e32 vcc, 0, v28
	v_cndmask_b32_e32 v11, v7, v2, vcc
; %bb.487:                              ;   in Loop: Header=BB2_381 Depth=2
	s_or_b64 exec, exec, s[48:49]
.LBB2_488:                              ;   in Loop: Header=BB2_381 Depth=2
	s_or_b64 exec, exec, s[46:47]
.LBB2_489:                              ;   in Loop: Header=BB2_381 Depth=2
	s_or_b64 exec, exec, s[16:17]
	v_cmp_lt_u32_e32 vcc, s37, v40
	s_and_saveexec_b64 s[16:17], vcc
	s_cbranch_execz .LBB2_497
; %bb.490:                              ;   in Loop: Header=BB2_381 Depth=2
	v_lshrrev_b32_e32 v2, 24, v40
	v_cmp_ne_u32_e32 vcc, s66, v2
	v_bfrev_b32_e32 v3, 1
	s_and_saveexec_b64 s[46:47], vcc
	s_cbranch_execz .LBB2_496
; %bb.491:                              ;   in Loop: Header=BB2_381 Depth=2
	v_and_b32_e32 v3, 0x7c000000, v40
	v_bfe_u32 v10, v40, 24, 2
	v_cmp_ne_u32_e32 vcc, s70, v3
                                        ; implicit-def: $vgpr3
	s_and_saveexec_b64 s[48:49], vcc
	s_xor_b64 s[48:49], exec, s[48:49]
	s_cbranch_execz .LBB2_493
; %bb.492:                              ;   in Loop: Header=BB2_381 Depth=2
	v_ffbh_u32_e32 v3, v10
	v_min_u32_e32 v17, 32, v3
	v_subrev_u32_e32 v3, 29, v17
	v_bfe_u32 v16, v40, 26, 5
	v_lshlrev_b64 v[2:3], v3, v[2:3]
	v_sub_u32_e32 v3, 30, v17
	v_cmp_eq_u32_e32 vcc, 0, v16
	v_cndmask_b32_e32 v3, v16, v3, vcc
	v_and_b32_e32 v2, 3, v2
	v_lshl_add_u32 v3, v3, 23, v25
	v_cndmask_b32_e32 v2, v10, v2, vcc
	v_and_or_b32 v3, v40, s65, v3
	v_lshl_or_b32 v3, v2, 21, v3
                                        ; implicit-def: $vgpr10
.LBB2_493:                              ;   in Loop: Header=BB2_381 Depth=2
	s_andn2_saveexec_b64 s[48:49], s[48:49]
; %bb.494:                              ;   in Loop: Header=BB2_381 Depth=2
	v_cmp_lt_i32_e32 vcc, -1, v40
	v_cndmask_b32_e32 v2, v47, v6, vcc
	v_cmp_eq_u32_e32 vcc, 0, v10
	v_cndmask_b32_e32 v3, v7, v2, vcc
; %bb.495:                              ;   in Loop: Header=BB2_381 Depth=2
	s_or_b64 exec, exec, s[48:49]
.LBB2_496:                              ;   in Loop: Header=BB2_381 Depth=2
	s_or_b64 exec, exec, s[46:47]
.LBB2_497:                              ;   in Loop: Header=BB2_381 Depth=2
	s_or_b64 exec, exec, s[16:17]
	v_mul_f32_e32 v2, v11, v3
	v_and_b32_sdwa v10, v2, s66 dst_sel:DWORD dst_unused:UNUSED_PAD src0_sel:BYTE_3 src1_sel:DWORD
	v_and_b32_e32 v16, 0x7f800000, v2
	v_mov_b32_e32 v17, v41
	v_and_b32_e32 v40, 0x7fffff, v2
	v_or_b32_e32 v11, 0x7b, v10
	v_cmp_ne_u64_e32 vcc, s[38:39], v[16:17]
	s_and_saveexec_b64 s[16:17], vcc
	s_xor_b64 s[46:47], exec, s[16:17]
	s_cbranch_execz .LBB2_507
; %bb.498:                              ;   in Loop: Header=BB2_381 Depth=2
	v_and_b32_e32 v16, 0x7fffffff, v2
	v_mov_b32_e32 v17, v41
	v_cmp_gt_u64_e32 vcc, s[40:41], v[16:17]
	s_and_saveexec_b64 s[48:49], vcc
	s_cbranch_execz .LBB2_506
; %bb.499:                              ;   in Loop: Header=BB2_381 Depth=2
	v_cmp_ne_u32_e32 vcc, 0, v2
	v_mov_b32_e32 v11, 0
	s_and_saveexec_b64 s[50:51], vcc
	s_cbranch_execz .LBB2_505
; %bb.500:                              ;   in Loop: Header=BB2_381 Depth=2
	v_bfe_u32 v2, v2, 23, 8
	v_sub_u32_e32 v11, 0x71, v2
	v_cmp_gt_u32_e32 vcc, s67, v2
	v_cndmask_b32_e32 v11, 0, v11, vcc
	v_cmp_eq_u32_e32 vcc, 0, v2
	v_or_b32_e32 v16, 0x800000, v40
	v_cndmask_b32_e32 v11, v11, v55, vcc
	v_add_u32_e32 v3, 0xffffff81, v2
	v_cndmask_b32_e32 v40, v16, v40, vcc
	v_add_u32_e32 v2, 21, v11
	v_cndmask_b32_e32 v22, v3, v54, vcc
	v_lshlrev_b64 v[2:3], v2, -1
	v_lshrrev_b64 v[28:29], v11, v[40:41]
	v_not_b32_e32 v3, v3
	v_not_b32_e32 v2, v2
	v_add_u32_e32 v16, 20, v11
	v_lshrrev_b32_e32 v23, 23, v28
	v_and_b32_e32 v3, 0, v3
	v_and_b32_e32 v2, v40, v2
	v_lshlrev_b64 v[16:17], v16, 1
	v_add3_u32 v23, v11, v22, v23
	v_bfe_u32 v11, v28, 21, 1
	v_add_u32_e32 v11, -1, v11
	v_cmp_eq_u64_e32 vcc, v[2:3], v[16:17]
	v_cndmask_b32_e32 v2, 0, v11, vcc
	v_add_u32_e32 v2, v2, v28
	v_and_b32_e32 v2, 0x1fffff, v2
	v_add_co_u32_e32 v2, vcc, v2, v28
	v_add_u32_e32 v22, 14, v23
	v_addc_co_u32_e32 v3, vcc, 0, v29, vcc
	v_cmp_ne_u32_e32 vcc, 0, v22
                                        ; implicit-def: $vgpr11
	s_and_saveexec_b64 s[16:17], vcc
	s_xor_b64 s[16:17], exec, s[16:17]
; %bb.501:                              ;   in Loop: Header=BB2_381 Depth=2
	v_cmp_lt_u64_e32 vcc, s[42:43], v[2:3]
	v_add_u32_e32 v11, 15, v23
	v_cndmask_b32_e64 v16, 0, 1, vcc
	v_cndmask_b32_e32 v11, v22, v11, vcc
	v_lshrrev_b64 v[2:3], v16, v[2:3]
; %bb.502:                              ;   in Loop: Header=BB2_381 Depth=2
	s_andn2_saveexec_b64 s[16:17], s[16:17]
; %bb.503:                              ;   in Loop: Header=BB2_381 Depth=2
	v_bfe_u32 v11, v2, 23, 1
; %bb.504:                              ;   in Loop: Header=BB2_381 Depth=2
	s_or_b64 exec, exec, s[16:17]
	v_lshrrev_b64 v[2:3], 21, v[2:3]
	v_cmp_gt_i32_e32 vcc, 32, v11
	v_cndmask_b32_e32 v3, 0, v3, vcc
	v_cndmask_b32_e32 v2, 3, v2, vcc
	v_cmp_eq_u64_e64 s[16:17], 0, v[2:3]
	v_min_i32_e32 v3, 31, v11
	v_cmp_eq_u32_e32 vcc, 0, v11
	v_lshlrev_b32_e32 v3, 2, v3
	v_and_or_b32 v2, v2, 3, v3
	s_and_b64 s[16:17], vcc, s[16:17]
	v_cndmask_b32_e64 v2, v2, 0, s[16:17]
	v_or_b32_e32 v11, v2, v10
.LBB2_505:                              ;   in Loop: Header=BB2_381 Depth=2
	s_or_b64 exec, exec, s[50:51]
.LBB2_506:                              ;   in Loop: Header=BB2_381 Depth=2
	s_or_b64 exec, exec, s[48:49]
                                        ; implicit-def: $vgpr2
.LBB2_507:                              ;   in Loop: Header=BB2_381 Depth=2
	s_andn2_saveexec_b64 s[16:17], s[46:47]
; %bb.508:                              ;   in Loop: Header=BB2_381 Depth=2
	v_or_b32_sdwa v2, v2, s68 dst_sel:DWORD dst_unused:UNUSED_PAD src0_sel:BYTE_3 src1_sel:DWORD
	v_cmp_eq_u64_e32 vcc, 0, v[40:41]
	v_cndmask_b32_e32 v11, v2, v11, vcc
; %bb.509:                              ;   in Loop: Header=BB2_381 Depth=2
	s_or_b64 exec, exec, s[16:17]
	v_cmp_ne_u16_sdwa vcc, v4, v41 src0_sel:BYTE_0 src1_sel:DWORD
	v_mov_b32_e32 v2, 0
	v_mov_b32_e32 v3, 0
	s_and_saveexec_b64 s[16:17], vcc
	s_cbranch_execz .LBB2_517
; %bb.510:                              ;   in Loop: Header=BB2_381 Depth=2
	v_cmp_ne_u16_sdwa vcc, sext(v4), s63 src0_sel:BYTE_0 src1_sel:DWORD
	v_bfrev_b32_e32 v3, 1
	s_and_saveexec_b64 s[46:47], vcc
	s_cbranch_execz .LBB2_516
; %bb.511:                              ;   in Loop: Header=BB2_381 Depth=2
	v_and_b32_e32 v3, 0x7c, v4
	v_and_b32_e32 v10, 3, v4
	v_cmp_ne_u32_e32 vcc, s64, v3
                                        ; implicit-def: $vgpr3
	s_and_saveexec_b64 s[48:49], vcc
	s_xor_b64 s[48:49], exec, s[48:49]
	s_cbranch_execz .LBB2_513
; %bb.512:                              ;   in Loop: Header=BB2_381 Depth=2
	v_ffbh_u32_e32 v16, v10
	v_min_u32_e32 v22, 32, v16
	v_bfe_u32 v3, v4, 2, 5
	v_subrev_u32_e32 v16, 29, v22
	v_lshlrev_b64 v[16:17], v16, v[4:5]
	v_sub_u32_e32 v5, 30, v22
	v_cmp_eq_u32_e32 vcc, 0, v3
	v_and_b32_e32 v16, 3, v16
	v_cndmask_b32_e32 v3, v3, v5, vcc
	v_cndmask_b32_e32 v5, v10, v16, vcc
	v_lshlrev_b32_e32 v10, 24, v4
	v_lshl_add_u32 v3, v3, 23, v25
	v_and_or_b32 v3, v10, s65, v3
	v_lshl_or_b32 v3, v5, 21, v3
                                        ; implicit-def: $vgpr10
.LBB2_513:                              ;   in Loop: Header=BB2_381 Depth=2
	s_andn2_saveexec_b64 s[48:49], s[48:49]
; %bb.514:                              ;   in Loop: Header=BB2_381 Depth=2
	v_cmp_gt_i16_sdwa vcc, sext(v4), v30 src0_sel:BYTE_0 src1_sel:DWORD
	v_cndmask_b32_e32 v3, v47, v6, vcc
	v_cmp_eq_u32_e32 vcc, 0, v10
	v_cndmask_b32_e32 v3, v7, v3, vcc
; %bb.515:                              ;   in Loop: Header=BB2_381 Depth=2
	s_or_b64 exec, exec, s[48:49]
.LBB2_516:                              ;   in Loop: Header=BB2_381 Depth=2
	s_or_b64 exec, exec, s[46:47]
.LBB2_517:                              ;   in Loop: Header=BB2_381 Depth=2
	s_or_b64 exec, exec, s[16:17]
	v_alignbit_b32 v40, v31, v32, v27
	v_cmp_ne_u16_sdwa vcc, v40, v41 src0_sel:BYTE_0 src1_sel:DWORD
	s_and_saveexec_b64 s[16:17], vcc
	s_cbranch_execz .LBB2_525
; %bb.518:                              ;   in Loop: Header=BB2_381 Depth=2
	v_cmp_ne_u16_sdwa vcc, sext(v40), s63 src0_sel:BYTE_0 src1_sel:DWORD
	v_bfrev_b32_e32 v2, 1
	s_and_saveexec_b64 s[46:47], vcc
	s_cbranch_execz .LBB2_524
; %bb.519:                              ;   in Loop: Header=BB2_381 Depth=2
	v_and_b32_e32 v2, 0x7c, v40
	v_and_b32_e32 v5, 3, v40
	v_cmp_ne_u32_e32 vcc, s64, v2
                                        ; implicit-def: $vgpr2
	s_and_saveexec_b64 s[48:49], vcc
	s_xor_b64 s[48:49], exec, s[48:49]
	s_cbranch_execz .LBB2_521
; %bb.520:                              ;   in Loop: Header=BB2_381 Depth=2
	v_ffbh_u32_e32 v10, v5
	v_bfe_u32 v2, v40, 2, 5
	v_min_u32_e32 v10, 32, v10
	v_subrev_u32_e32 v16, 29, v10
	v_sub_u32_e32 v10, 30, v10
	v_cmp_eq_u32_e32 vcc, 0, v2
	v_lshlrev_b64 v[16:17], v16, v[40:41]
	v_cndmask_b32_e32 v2, v2, v10, vcc
	v_and_b32_e32 v16, 3, v16
	v_lshlrev_b32_e32 v10, 24, v40
	v_lshl_add_u32 v2, v2, 23, v25
	v_cndmask_b32_e32 v5, v5, v16, vcc
	v_and_or_b32 v2, v10, s65, v2
	v_lshl_or_b32 v2, v5, 21, v2
                                        ; implicit-def: $vgpr5
.LBB2_521:                              ;   in Loop: Header=BB2_381 Depth=2
	s_andn2_saveexec_b64 s[48:49], s[48:49]
; %bb.522:                              ;   in Loop: Header=BB2_381 Depth=2
	v_cmp_gt_i16_sdwa vcc, sext(v40), v30 src0_sel:BYTE_0 src1_sel:DWORD
	v_cndmask_b32_e32 v2, v47, v6, vcc
	v_cmp_eq_u32_e32 vcc, 0, v5
	v_cndmask_b32_e32 v2, v7, v2, vcc
; %bb.523:                              ;   in Loop: Header=BB2_381 Depth=2
	s_or_b64 exec, exec, s[48:49]
.LBB2_524:                              ;   in Loop: Header=BB2_381 Depth=2
	s_or_b64 exec, exec, s[46:47]
.LBB2_525:                              ;   in Loop: Header=BB2_381 Depth=2
	s_or_b64 exec, exec, s[16:17]
	v_mul_f32_e32 v27, v3, v2
	v_and_b32_sdwa v10, v27, s66 dst_sel:DWORD dst_unused:UNUSED_PAD src0_sel:BYTE_3 src1_sel:DWORD
	v_and_b32_e32 v16, 0x7f800000, v27
	v_mov_b32_e32 v17, v41
	v_and_b32_e32 v2, 0x7fffff, v27
	v_mov_b32_e32 v3, v41
	v_or_b32_e32 v5, 0x7b, v10
	v_cmp_ne_u64_e32 vcc, s[38:39], v[16:17]
	s_and_saveexec_b64 s[16:17], vcc
	s_xor_b64 s[46:47], exec, s[16:17]
	s_cbranch_execz .LBB2_535
; %bb.526:                              ;   in Loop: Header=BB2_381 Depth=2
	v_and_b32_e32 v16, 0x7fffffff, v27
	v_mov_b32_e32 v17, v41
	v_cmp_gt_u64_e32 vcc, s[40:41], v[16:17]
	s_and_saveexec_b64 s[48:49], vcc
	s_cbranch_execz .LBB2_534
; %bb.527:                              ;   in Loop: Header=BB2_381 Depth=2
	v_cmp_ne_u32_e32 vcc, 0, v27
	v_mov_b32_e32 v5, 0
	s_and_saveexec_b64 s[50:51], vcc
	s_cbranch_execz .LBB2_533
; %bb.528:                              ;   in Loop: Header=BB2_381 Depth=2
	v_bfe_u32 v5, v27, 23, 8
	v_sub_u32_e32 v17, 0x71, v5
	v_cmp_gt_u32_e32 vcc, s67, v5
	v_cndmask_b32_e32 v17, 0, v17, vcc
	v_cmp_eq_u32_e32 vcc, 0, v5
	v_add_u32_e32 v16, 0xffffff81, v5
	v_cndmask_b32_e32 v23, v17, v55, vcc
	v_cndmask_b32_e32 v5, v16, v54, vcc
	v_add_u32_e32 v16, 21, v23
	v_or_b32_e32 v22, 0x800000, v2
	v_lshlrev_b64 v[16:17], v16, -1
	v_cndmask_b32_e32 v2, v22, v2, vcc
	v_not_b32_e32 v16, v16
	v_and_b32_e32 v16, v2, v16
	v_add_u32_e32 v22, 20, v23
	v_lshrrev_b64 v[2:3], v23, v[2:3]
	v_not_b32_e32 v17, v17
	v_lshlrev_b64 v[28:29], v22, 1
	v_lshrrev_b32_e32 v22, 23, v2
	v_and_b32_e32 v17, 0, v17
	v_add3_u32 v23, v23, v5, v22
	v_bfe_u32 v5, v2, 21, 1
	v_add_u32_e32 v5, -1, v5
	v_cmp_eq_u64_e32 vcc, v[16:17], v[28:29]
	v_cndmask_b32_e32 v5, 0, v5, vcc
	v_add_u32_e32 v5, v5, v2
	v_and_b32_e32 v5, 0x1fffff, v5
	v_add_co_u32_e32 v2, vcc, v5, v2
	v_add_u32_e32 v22, 14, v23
	v_addc_co_u32_e32 v3, vcc, 0, v3, vcc
	v_cmp_ne_u32_e32 vcc, 0, v22
                                        ; implicit-def: $vgpr5
	s_and_saveexec_b64 s[16:17], vcc
	s_xor_b64 s[16:17], exec, s[16:17]
; %bb.529:                              ;   in Loop: Header=BB2_381 Depth=2
	v_cmp_lt_u64_e32 vcc, s[42:43], v[2:3]
	v_add_u32_e32 v5, 15, v23
	v_cndmask_b32_e64 v16, 0, 1, vcc
	v_cndmask_b32_e32 v5, v22, v5, vcc
	v_lshrrev_b64 v[2:3], v16, v[2:3]
; %bb.530:                              ;   in Loop: Header=BB2_381 Depth=2
	s_andn2_saveexec_b64 s[16:17], s[16:17]
; %bb.531:                              ;   in Loop: Header=BB2_381 Depth=2
	v_bfe_u32 v5, v2, 23, 1
; %bb.532:                              ;   in Loop: Header=BB2_381 Depth=2
	s_or_b64 exec, exec, s[16:17]
	v_lshrrev_b64 v[2:3], 21, v[2:3]
	v_cmp_gt_i32_e32 vcc, 32, v5
	v_cndmask_b32_e32 v3, 0, v3, vcc
	v_cndmask_b32_e32 v2, 3, v2, vcc
	v_cmp_eq_u64_e64 s[16:17], 0, v[2:3]
	v_min_i32_e32 v3, 31, v5
	v_cmp_eq_u32_e32 vcc, 0, v5
	v_lshlrev_b32_e32 v3, 2, v3
	v_and_or_b32 v2, v2, 3, v3
	s_and_b64 s[16:17], vcc, s[16:17]
	v_cndmask_b32_e64 v2, v2, 0, s[16:17]
	v_or_b32_e32 v5, v2, v10
.LBB2_533:                              ;   in Loop: Header=BB2_381 Depth=2
	s_or_b64 exec, exec, s[50:51]
.LBB2_534:                              ;   in Loop: Header=BB2_381 Depth=2
	s_or_b64 exec, exec, s[48:49]
                                        ; implicit-def: $vgpr27
                                        ; implicit-def: $vgpr2_vgpr3
.LBB2_535:                              ;   in Loop: Header=BB2_381 Depth=2
	s_andn2_saveexec_b64 s[16:17], s[46:47]
; %bb.536:                              ;   in Loop: Header=BB2_381 Depth=2
	v_or_b32_sdwa v10, v27, s68 dst_sel:DWORD dst_unused:UNUSED_PAD src0_sel:BYTE_3 src1_sel:DWORD
	v_cmp_eq_u64_e32 vcc, 0, v[2:3]
	v_cndmask_b32_e32 v5, v10, v5, vcc
; %bb.537:                              ;   in Loop: Header=BB2_381 Depth=2
	s_or_b64 exec, exec, s[16:17]
	v_lshrrev_b16_e32 v2, 8, v4
	v_cmp_ne_u16_e32 vcc, 0, v2
	v_mov_b32_e32 v10, 0
	v_mov_b32_e32 v27, 0
	s_and_saveexec_b64 s[16:17], vcc
	s_cbranch_execz .LBB2_545
; %bb.538:                              ;   in Loop: Header=BB2_381 Depth=2
	v_cmp_ne_u16_e32 vcc, s66, v2
	v_bfrev_b32_e32 v27, 1
	s_and_saveexec_b64 s[46:47], vcc
	s_cbranch_execz .LBB2_544
; %bb.539:                              ;   in Loop: Header=BB2_381 Depth=2
	v_and_b32_e32 v3, 0x7c, v2
	v_and_b32_e32 v22, 3, v2
	v_cmp_ne_u32_e32 vcc, s64, v3
                                        ; implicit-def: $vgpr27
	s_and_saveexec_b64 s[48:49], vcc
	s_xor_b64 s[48:49], exec, s[48:49]
	s_cbranch_execz .LBB2_541
; %bb.540:                              ;   in Loop: Header=BB2_381 Depth=2
	v_ffbh_u32_e32 v17, v22
	v_min_u32_e32 v17, 32, v17
	v_mov_b32_e32 v3, v41
	v_subrev_u32_e32 v23, 29, v17
	v_bfe_u32 v16, v2, 2, 5
	v_lshlrev_b64 v[2:3], v23, v[2:3]
	v_sub_u32_e32 v3, 30, v17
	v_cmp_eq_u32_e32 vcc, 0, v16
	v_cndmask_b32_e32 v3, v16, v3, vcc
	v_and_b32_e32 v2, 3, v2
	v_lshlrev_b32_e32 v16, 16, v4
	v_lshl_add_u32 v3, v3, 23, v25
	v_cndmask_b32_e32 v2, v22, v2, vcc
	v_and_or_b32 v3, v16, s65, v3
	v_lshl_or_b32 v27, v2, 21, v3
                                        ; implicit-def: $vgpr22
.LBB2_541:                              ;   in Loop: Header=BB2_381 Depth=2
	s_andn2_saveexec_b64 s[48:49], s[48:49]
; %bb.542:                              ;   in Loop: Header=BB2_381 Depth=2
	v_cmp_lt_i16_e32 vcc, -1, v4
	v_cndmask_b32_e32 v2, v47, v6, vcc
	v_cmp_eq_u32_e32 vcc, 0, v22
	v_cndmask_b32_e32 v27, v7, v2, vcc
; %bb.543:                              ;   in Loop: Header=BB2_381 Depth=2
	s_or_b64 exec, exec, s[48:49]
.LBB2_544:                              ;   in Loop: Header=BB2_381 Depth=2
	s_or_b64 exec, exec, s[46:47]
.LBB2_545:                              ;   in Loop: Header=BB2_381 Depth=2
	s_or_b64 exec, exec, s[16:17]
	v_lshrrev_b16_e32 v2, 8, v40
	v_cmp_ne_u16_e32 vcc, 0, v2
	s_and_saveexec_b64 s[16:17], vcc
	s_cbranch_execz .LBB2_553
; %bb.546:                              ;   in Loop: Header=BB2_381 Depth=2
	v_cmp_ne_u16_e32 vcc, s66, v2
	v_bfrev_b32_e32 v10, 1
	s_and_saveexec_b64 s[46:47], vcc
	s_cbranch_execz .LBB2_552
; %bb.547:                              ;   in Loop: Header=BB2_381 Depth=2
	v_and_b32_e32 v3, 0x7c, v2
	v_and_b32_e32 v22, 3, v2
	v_cmp_ne_u32_e32 vcc, s64, v3
                                        ; implicit-def: $vgpr10
	s_and_saveexec_b64 s[48:49], vcc
	s_xor_b64 s[48:49], exec, s[48:49]
	s_cbranch_execz .LBB2_549
; %bb.548:                              ;   in Loop: Header=BB2_381 Depth=2
	v_ffbh_u32_e32 v16, v22
	v_min_u32_e32 v16, 32, v16
	v_mov_b32_e32 v3, v41
	v_subrev_u32_e32 v17, 29, v16
	v_bfe_u32 v10, v2, 2, 5
	v_lshlrev_b64 v[2:3], v17, v[2:3]
	v_sub_u32_e32 v3, 30, v16
	v_cmp_eq_u32_e32 vcc, 0, v10
	v_cndmask_b32_e32 v3, v10, v3, vcc
	v_and_b32_e32 v2, 3, v2
	v_lshlrev_b32_e32 v10, 16, v40
	v_lshl_add_u32 v3, v3, 23, v25
	v_cndmask_b32_e32 v2, v22, v2, vcc
	v_and_or_b32 v3, v10, s65, v3
	v_lshl_or_b32 v10, v2, 21, v3
                                        ; implicit-def: $vgpr22
.LBB2_549:                              ;   in Loop: Header=BB2_381 Depth=2
	s_andn2_saveexec_b64 s[48:49], s[48:49]
; %bb.550:                              ;   in Loop: Header=BB2_381 Depth=2
	v_cmp_lt_i16_e32 vcc, -1, v40
	v_cndmask_b32_e32 v2, v47, v6, vcc
	v_cmp_eq_u32_e32 vcc, 0, v22
	v_cndmask_b32_e32 v10, v7, v2, vcc
; %bb.551:                              ;   in Loop: Header=BB2_381 Depth=2
	s_or_b64 exec, exec, s[48:49]
.LBB2_552:                              ;   in Loop: Header=BB2_381 Depth=2
	s_or_b64 exec, exec, s[46:47]
.LBB2_553:                              ;   in Loop: Header=BB2_381 Depth=2
	s_or_b64 exec, exec, s[16:17]
	v_mul_f32_e32 v28, v27, v10
	v_and_b32_sdwa v10, v28, s66 dst_sel:DWORD dst_unused:UNUSED_PAD src0_sel:BYTE_3 src1_sel:DWORD
	v_and_b32_e32 v16, 0x7f800000, v28
	v_mov_b32_e32 v17, v41
	v_and_b32_e32 v2, 0x7fffff, v28
	v_mov_b32_e32 v3, v41
	v_or_b32_e32 v27, 0x7b, v10
	v_cmp_ne_u64_e32 vcc, s[38:39], v[16:17]
	s_and_saveexec_b64 s[16:17], vcc
	s_xor_b64 s[46:47], exec, s[16:17]
	s_cbranch_execz .LBB2_563
; %bb.554:                              ;   in Loop: Header=BB2_381 Depth=2
	v_and_b32_e32 v16, 0x7fffffff, v28
	v_mov_b32_e32 v17, v41
	v_cmp_gt_u64_e32 vcc, s[40:41], v[16:17]
	s_and_saveexec_b64 s[48:49], vcc
	s_cbranch_execz .LBB2_562
; %bb.555:                              ;   in Loop: Header=BB2_381 Depth=2
	v_cmp_ne_u32_e32 vcc, 0, v28
	v_mov_b32_e32 v27, 0
	s_and_saveexec_b64 s[50:51], vcc
	s_cbranch_execz .LBB2_561
; %bb.556:                              ;   in Loop: Header=BB2_381 Depth=2
	v_bfe_u32 v16, v28, 23, 8
	v_sub_u32_e32 v22, 0x71, v16
	v_cmp_gt_u32_e32 vcc, s67, v16
	v_cndmask_b32_e32 v22, 0, v22, vcc
	v_cmp_eq_u32_e32 vcc, 0, v16
	v_cndmask_b32_e32 v22, v22, v55, vcc
	v_add_u32_e32 v17, 0xffffff81, v16
	v_add_u32_e32 v16, 21, v22
	v_or_b32_e32 v23, 0x800000, v2
	v_cndmask_b32_e32 v27, v17, v54, vcc
	v_lshlrev_b64 v[16:17], v16, -1
	v_cndmask_b32_e32 v2, v23, v2, vcc
	v_not_b32_e32 v16, v16
	v_and_b32_e32 v16, v2, v16
	v_add_u32_e32 v23, 20, v22
	v_lshrrev_b64 v[2:3], v22, v[2:3]
	v_not_b32_e32 v17, v17
	v_lshlrev_b64 v[28:29], v23, 1
	v_lshrrev_b32_e32 v23, 23, v2
	v_and_b32_e32 v17, 0, v17
	v_add3_u32 v23, v22, v27, v23
	v_bfe_u32 v27, v2, 21, 1
	v_add_u32_e32 v27, -1, v27
	v_cmp_eq_u64_e32 vcc, v[16:17], v[28:29]
	v_cndmask_b32_e32 v16, 0, v27, vcc
	v_add_u32_e32 v16, v16, v2
	v_and_b32_e32 v16, 0x1fffff, v16
	v_add_co_u32_e32 v2, vcc, v16, v2
	v_add_u32_e32 v22, 14, v23
	v_addc_co_u32_e32 v3, vcc, 0, v3, vcc
	v_cmp_ne_u32_e32 vcc, 0, v22
                                        ; implicit-def: $vgpr27
	s_and_saveexec_b64 s[16:17], vcc
	s_xor_b64 s[16:17], exec, s[16:17]
; %bb.557:                              ;   in Loop: Header=BB2_381 Depth=2
	v_add_u32_e32 v16, 15, v23
	v_cmp_lt_u64_e32 vcc, s[42:43], v[2:3]
	v_cndmask_b32_e32 v27, v22, v16, vcc
	v_cndmask_b32_e64 v16, 0, 1, vcc
	v_lshrrev_b64 v[2:3], v16, v[2:3]
; %bb.558:                              ;   in Loop: Header=BB2_381 Depth=2
	s_andn2_saveexec_b64 s[16:17], s[16:17]
; %bb.559:                              ;   in Loop: Header=BB2_381 Depth=2
	v_bfe_u32 v27, v2, 23, 1
; %bb.560:                              ;   in Loop: Header=BB2_381 Depth=2
	s_or_b64 exec, exec, s[16:17]
	v_lshrrev_b64 v[2:3], 21, v[2:3]
	v_cmp_gt_i32_e32 vcc, 32, v27
	v_cndmask_b32_e32 v3, 0, v3, vcc
	v_cndmask_b32_e32 v2, 3, v2, vcc
	v_cmp_eq_u64_e64 s[16:17], 0, v[2:3]
	v_min_i32_e32 v3, 31, v27
	v_cmp_eq_u32_e32 vcc, 0, v27
	v_lshlrev_b32_e32 v3, 2, v3
	v_and_or_b32 v2, v2, 3, v3
	s_and_b64 s[16:17], vcc, s[16:17]
	v_cndmask_b32_e64 v2, v2, 0, s[16:17]
	v_or_b32_e32 v27, v2, v10
.LBB2_561:                              ;   in Loop: Header=BB2_381 Depth=2
	s_or_b64 exec, exec, s[50:51]
.LBB2_562:                              ;   in Loop: Header=BB2_381 Depth=2
	s_or_b64 exec, exec, s[48:49]
                                        ; implicit-def: $vgpr28
                                        ; implicit-def: $vgpr2_vgpr3
.LBB2_563:                              ;   in Loop: Header=BB2_381 Depth=2
	s_andn2_saveexec_b64 s[16:17], s[46:47]
; %bb.564:                              ;   in Loop: Header=BB2_381 Depth=2
	v_or_b32_sdwa v10, v28, s68 dst_sel:DWORD dst_unused:UNUSED_PAD src0_sel:BYTE_3 src1_sel:DWORD
	v_cmp_eq_u64_e32 vcc, 0, v[2:3]
	v_cndmask_b32_e32 v27, v10, v27, vcc
; %bb.565:                              ;   in Loop: Header=BB2_381 Depth=2
	s_or_b64 exec, exec, s[16:17]
	v_lshrrev_b32_e32 v2, 16, v4
	v_cmp_ne_u16_sdwa vcc, v2, v41 src0_sel:BYTE_0 src1_sel:DWORD
	v_mov_b32_e32 v3, 0
	v_mov_b32_e32 v10, 0
	s_and_saveexec_b64 s[16:17], vcc
	s_cbranch_execz .LBB2_573
; %bb.566:                              ;   in Loop: Header=BB2_381 Depth=2
	v_cmp_ne_u16_sdwa vcc, v2, s66 src0_sel:BYTE_0 src1_sel:DWORD
	v_bfrev_b32_e32 v10, 1
	s_and_saveexec_b64 s[46:47], vcc
	s_cbranch_execz .LBB2_572
; %bb.567:                              ;   in Loop: Header=BB2_381 Depth=2
	v_and_b32_e32 v10, 0x7c0000, v4
	v_bfe_u32 v28, v4, 16, 2
	v_cmp_ne_u32_e32 vcc, s69, v10
                                        ; implicit-def: $vgpr10
	s_and_saveexec_b64 s[48:49], vcc
	s_xor_b64 s[48:49], exec, s[48:49]
	s_cbranch_execz .LBB2_569
; %bb.568:                              ;   in Loop: Header=BB2_381 Depth=2
	v_ffbh_u32_e32 v16, v28
	v_min_u32_e32 v22, 32, v16
	v_bfe_u32 v10, v4, 18, 5
	v_subrev_u32_e32 v16, 29, v22
	v_lshlrev_b64 v[16:17], v16, v[2:3]
	v_sub_u32_e32 v2, 30, v22
	v_cmp_eq_u32_e32 vcc, 0, v10
	v_and_b32_e32 v16, 3, v16
	v_cndmask_b32_e32 v2, v10, v2, vcc
	v_cndmask_b32_e32 v10, v28, v16, vcc
	v_lshlrev_b32_e32 v16, 8, v4
	v_lshl_add_u32 v2, v2, 23, v25
	v_and_or_b32 v2, v16, s65, v2
	v_lshl_or_b32 v10, v10, 21, v2
                                        ; implicit-def: $vgpr28
                                        ; implicit-def: $vgpr2
.LBB2_569:                              ;   in Loop: Header=BB2_381 Depth=2
	s_andn2_saveexec_b64 s[48:49], s[48:49]
; %bb.570:                              ;   in Loop: Header=BB2_381 Depth=2
	v_cmp_gt_i16_sdwa vcc, sext(v2), v30 src0_sel:BYTE_0 src1_sel:DWORD
	v_cndmask_b32_e32 v2, v47, v6, vcc
	v_cmp_eq_u32_e32 vcc, 0, v28
	v_cndmask_b32_e32 v10, v7, v2, vcc
; %bb.571:                              ;   in Loop: Header=BB2_381 Depth=2
	s_or_b64 exec, exec, s[48:49]
.LBB2_572:                              ;   in Loop: Header=BB2_381 Depth=2
	s_or_b64 exec, exec, s[46:47]
.LBB2_573:                              ;   in Loop: Header=BB2_381 Depth=2
	s_or_b64 exec, exec, s[16:17]
	v_and_b32_sdwa v22, v40, s62 dst_sel:DWORD dst_unused:UNUSED_PAD src0_sel:WORD_1 src1_sel:DWORD
	v_lshrrev_b32_e32 v2, 16, v40
	v_cmp_ne_u16_e32 vcc, 0, v22
	s_and_saveexec_b64 s[16:17], vcc
	s_cbranch_execz .LBB2_581
; %bb.574:                              ;   in Loop: Header=BB2_381 Depth=2
	v_cmp_ne_u16_e32 vcc, s66, v22
	v_bfrev_b32_e32 v3, 1
	s_and_saveexec_b64 s[46:47], vcc
	s_cbranch_execz .LBB2_580
; %bb.575:                              ;   in Loop: Header=BB2_381 Depth=2
	v_and_b32_e32 v3, 0x7c0000, v40
	v_bfe_u32 v28, v40, 16, 2
	v_cmp_ne_u32_e32 vcc, s69, v3
                                        ; implicit-def: $vgpr3
	s_and_saveexec_b64 s[48:49], vcc
	s_xor_b64 s[48:49], exec, s[48:49]
	s_cbranch_execz .LBB2_577
; %bb.576:                              ;   in Loop: Header=BB2_381 Depth=2
	v_ffbh_u32_e32 v3, v28
	v_min_u32_e32 v17, 32, v3
	v_subrev_u32_e32 v3, 29, v17
	v_bfe_u32 v16, v40, 18, 5
	v_lshlrev_b64 v[2:3], v3, v[2:3]
	v_sub_u32_e32 v3, 30, v17
	v_cmp_eq_u32_e32 vcc, 0, v16
	v_cndmask_b32_e32 v3, v16, v3, vcc
	v_and_b32_e32 v2, 3, v2
	v_lshlrev_b32_e32 v16, 8, v40
	v_lshl_add_u32 v3, v3, 23, v25
	v_cndmask_b32_e32 v2, v28, v2, vcc
	v_and_or_b32 v3, v16, s65, v3
	v_lshl_or_b32 v3, v2, 21, v3
                                        ; implicit-def: $vgpr28
                                        ; implicit-def: $vgpr2
.LBB2_577:                              ;   in Loop: Header=BB2_381 Depth=2
	s_andn2_saveexec_b64 s[48:49], s[48:49]
; %bb.578:                              ;   in Loop: Header=BB2_381 Depth=2
	v_cmp_gt_i16_sdwa vcc, sext(v2), v30 src0_sel:BYTE_0 src1_sel:DWORD
	v_cndmask_b32_e32 v2, v47, v6, vcc
	v_cmp_eq_u32_e32 vcc, 0, v28
	v_cndmask_b32_e32 v3, v7, v2, vcc
; %bb.579:                              ;   in Loop: Header=BB2_381 Depth=2
	s_or_b64 exec, exec, s[48:49]
.LBB2_580:                              ;   in Loop: Header=BB2_381 Depth=2
	s_or_b64 exec, exec, s[46:47]
.LBB2_581:                              ;   in Loop: Header=BB2_381 Depth=2
	s_or_b64 exec, exec, s[16:17]
	v_mul_f32_e32 v29, v10, v3
	v_and_b32_sdwa v10, v29, s66 dst_sel:DWORD dst_unused:UNUSED_PAD src0_sel:BYTE_3 src1_sel:DWORD
	v_and_b32_e32 v16, 0x7f800000, v29
	v_mov_b32_e32 v17, v41
	v_and_b32_e32 v2, 0x7fffff, v29
	v_mov_b32_e32 v3, v41
	v_or_b32_e32 v28, 0x7b, v10
	v_cmp_ne_u64_e32 vcc, s[38:39], v[16:17]
	s_and_saveexec_b64 s[16:17], vcc
	s_xor_b64 s[46:47], exec, s[16:17]
	s_cbranch_execz .LBB2_591
; %bb.582:                              ;   in Loop: Header=BB2_381 Depth=2
	v_and_b32_e32 v16, 0x7fffffff, v29
	v_mov_b32_e32 v17, v41
	v_cmp_gt_u64_e32 vcc, s[40:41], v[16:17]
	s_and_saveexec_b64 s[48:49], vcc
	s_cbranch_execz .LBB2_590
; %bb.583:                              ;   in Loop: Header=BB2_381 Depth=2
	v_cmp_ne_u32_e32 vcc, 0, v29
	v_mov_b32_e32 v28, 0
	s_and_saveexec_b64 s[50:51], vcc
	s_cbranch_execz .LBB2_589
; %bb.584:                              ;   in Loop: Header=BB2_381 Depth=2
	v_bfe_u32 v16, v29, 23, 8
	v_sub_u32_e32 v22, 0x71, v16
	v_cmp_gt_u32_e32 vcc, s67, v16
	v_cndmask_b32_e32 v22, 0, v22, vcc
	v_cmp_eq_u32_e32 vcc, 0, v16
	v_cndmask_b32_e32 v22, v22, v55, vcc
	v_add_u32_e32 v17, 0xffffff81, v16
	v_add_u32_e32 v16, 21, v22
	v_or_b32_e32 v23, 0x800000, v2
	v_cndmask_b32_e32 v31, v17, v54, vcc
	v_lshlrev_b64 v[16:17], v16, -1
	v_cndmask_b32_e32 v2, v23, v2, vcc
	v_not_b32_e32 v16, v16
	v_and_b32_e32 v16, v2, v16
	v_add_u32_e32 v23, 20, v22
	v_lshrrev_b64 v[2:3], v22, v[2:3]
	v_not_b32_e32 v17, v17
	v_lshlrev_b64 v[28:29], v23, 1
	v_lshrrev_b32_e32 v23, 23, v2
	v_and_b32_e32 v17, 0, v17
	v_add3_u32 v23, v22, v31, v23
	v_bfe_u32 v31, v2, 21, 1
	v_add_u32_e32 v31, -1, v31
	v_cmp_eq_u64_e32 vcc, v[16:17], v[28:29]
	v_cndmask_b32_e32 v16, 0, v31, vcc
	v_add_u32_e32 v16, v16, v2
	v_and_b32_e32 v16, 0x1fffff, v16
	v_add_co_u32_e32 v2, vcc, v16, v2
	v_add_u32_e32 v22, 14, v23
	v_addc_co_u32_e32 v3, vcc, 0, v3, vcc
	v_cmp_ne_u32_e32 vcc, 0, v22
                                        ; implicit-def: $vgpr28
	s_and_saveexec_b64 s[16:17], vcc
	s_xor_b64 s[16:17], exec, s[16:17]
; %bb.585:                              ;   in Loop: Header=BB2_381 Depth=2
	v_add_u32_e32 v16, 15, v23
	v_cmp_lt_u64_e32 vcc, s[42:43], v[2:3]
	v_cndmask_b32_e32 v28, v22, v16, vcc
	v_cndmask_b32_e64 v16, 0, 1, vcc
	v_lshrrev_b64 v[2:3], v16, v[2:3]
; %bb.586:                              ;   in Loop: Header=BB2_381 Depth=2
	s_andn2_saveexec_b64 s[16:17], s[16:17]
; %bb.587:                              ;   in Loop: Header=BB2_381 Depth=2
	v_bfe_u32 v28, v2, 23, 1
; %bb.588:                              ;   in Loop: Header=BB2_381 Depth=2
	s_or_b64 exec, exec, s[16:17]
	v_lshrrev_b64 v[2:3], 21, v[2:3]
	v_cmp_gt_i32_e32 vcc, 32, v28
	v_cndmask_b32_e32 v3, 0, v3, vcc
	v_cndmask_b32_e32 v2, 3, v2, vcc
	v_cmp_eq_u64_e64 s[16:17], 0, v[2:3]
	v_min_i32_e32 v3, 31, v28
	v_lshlrev_b32_e32 v3, 2, v3
	v_cmp_eq_u32_e32 vcc, 0, v28
	v_and_b32_e32 v3, 0xfc, v3
	v_and_or_b32 v2, v2, 3, v3
	s_and_b64 s[16:17], vcc, s[16:17]
	v_cndmask_b32_e64 v2, v2, 0, s[16:17]
	v_or_b32_e32 v28, v2, v10
.LBB2_589:                              ;   in Loop: Header=BB2_381 Depth=2
	s_or_b64 exec, exec, s[50:51]
.LBB2_590:                              ;   in Loop: Header=BB2_381 Depth=2
	s_or_b64 exec, exec, s[48:49]
                                        ; implicit-def: $vgpr29
                                        ; implicit-def: $vgpr2_vgpr3
.LBB2_591:                              ;   in Loop: Header=BB2_381 Depth=2
	s_andn2_saveexec_b64 s[16:17], s[46:47]
; %bb.592:                              ;   in Loop: Header=BB2_381 Depth=2
	v_or_b32_sdwa v10, v29, s68 dst_sel:DWORD dst_unused:UNUSED_PAD src0_sel:BYTE_3 src1_sel:DWORD
	v_cmp_eq_u64_e32 vcc, 0, v[2:3]
	v_cndmask_b32_e32 v28, v10, v28, vcc
; %bb.593:                              ;   in Loop: Header=BB2_381 Depth=2
	s_or_b64 exec, exec, s[16:17]
	v_mov_b32_e32 v2, v41
	v_mov_b32_e32 v3, v4
	v_cmp_lt_u64_e32 vcc, s[36:37], v[2:3]
	v_mov_b32_e32 v29, 0
	v_mov_b32_e32 v31, 0
	s_and_saveexec_b64 s[16:17], vcc
	s_cbranch_execz .LBB2_601
; %bb.594:                              ;   in Loop: Header=BB2_381 Depth=2
	v_lshrrev_b32_e32 v10, 24, v4
	v_cmp_ne_u32_e32 vcc, s66, v10
	v_bfrev_b32_e32 v31, 1
	s_and_saveexec_b64 s[46:47], vcc
	s_cbranch_execz .LBB2_600
; %bb.595:                              ;   in Loop: Header=BB2_381 Depth=2
	v_and_b32_e32 v16, 0x7c000000, v4
	v_bfe_u32 v32, v4, 24, 2
	v_cmp_ne_u32_e32 vcc, s70, v16
                                        ; implicit-def: $vgpr31
	s_and_saveexec_b64 s[48:49], vcc
	s_xor_b64 s[48:49], exec, s[48:49]
	s_cbranch_execz .LBB2_597
; %bb.596:                              ;   in Loop: Header=BB2_381 Depth=2
	v_ffbh_u32_e32 v2, v32
	v_min_u32_e32 v17, 32, v2
	v_subrev_u32_e32 v2, 29, v17
	v_bfe_u32 v16, v4, 26, 5
	v_lshlrev_b64 v[2:3], v2, v[10:11]
	v_sub_u32_e32 v3, 30, v17
	v_cmp_eq_u32_e32 vcc, 0, v16
	v_cndmask_b32_e32 v3, v16, v3, vcc
	v_and_b32_e32 v2, 3, v2
	v_lshl_add_u32 v3, v3, 23, v25
	v_cndmask_b32_e32 v2, v32, v2, vcc
	v_and_or_b32 v3, v4, s65, v3
	v_lshl_or_b32 v31, v2, 21, v3
                                        ; implicit-def: $vgpr32
                                        ; implicit-def: $vgpr2_vgpr3
.LBB2_597:                              ;   in Loop: Header=BB2_381 Depth=2
	s_andn2_saveexec_b64 s[48:49], s[48:49]
; %bb.598:                              ;   in Loop: Header=BB2_381 Depth=2
	v_cmp_lt_i64_e32 vcc, -1, v[2:3]
	v_cndmask_b32_e32 v2, v47, v6, vcc
	v_cmp_eq_u32_e32 vcc, 0, v32
	v_cndmask_b32_e32 v31, v7, v2, vcc
; %bb.599:                              ;   in Loop: Header=BB2_381 Depth=2
	s_or_b64 exec, exec, s[48:49]
.LBB2_600:                              ;   in Loop: Header=BB2_381 Depth=2
	s_or_b64 exec, exec, s[46:47]
.LBB2_601:                              ;   in Loop: Header=BB2_381 Depth=2
	s_or_b64 exec, exec, s[16:17]
	v_cmp_lt_u32_e32 vcc, s37, v40
	s_and_saveexec_b64 s[16:17], vcc
	s_cbranch_execz .LBB2_609
; %bb.602:                              ;   in Loop: Header=BB2_381 Depth=2
	v_lshrrev_b32_e32 v2, 24, v40
	v_cmp_ne_u32_e32 vcc, s66, v2
	v_bfrev_b32_e32 v29, 1
	s_and_saveexec_b64 s[46:47], vcc
	s_cbranch_execz .LBB2_608
; %bb.603:                              ;   in Loop: Header=BB2_381 Depth=2
	v_and_b32_e32 v4, 0x7c000000, v40
	v_bfe_u32 v3, v40, 24, 2
	v_cmp_ne_u32_e32 vcc, s70, v4
                                        ; implicit-def: $vgpr29
	s_and_saveexec_b64 s[48:49], vcc
	s_xor_b64 s[48:49], exec, s[48:49]
	s_cbranch_execz .LBB2_605
; %bb.604:                              ;   in Loop: Header=BB2_381 Depth=2
	v_ffbh_u32_e32 v10, v3
	v_min_u32_e32 v10, 32, v10
	v_bfe_u32 v4, v40, 26, 5
	v_subrev_u32_e32 v16, 29, v10
	v_lshlrev_b64 v[16:17], v16, v[2:3]
	v_sub_u32_e32 v2, 30, v10
	v_cmp_eq_u32_e32 vcc, 0, v4
	v_cndmask_b32_e32 v2, v4, v2, vcc
	v_and_b32_e32 v10, 3, v16
	v_lshl_add_u32 v2, v2, 23, v25
	v_cndmask_b32_e32 v3, v3, v10, vcc
	v_and_or_b32 v2, v40, s65, v2
	v_lshl_or_b32 v29, v3, 21, v2
                                        ; implicit-def: $vgpr3
.LBB2_605:                              ;   in Loop: Header=BB2_381 Depth=2
	s_andn2_saveexec_b64 s[48:49], s[48:49]
; %bb.606:                              ;   in Loop: Header=BB2_381 Depth=2
	v_cmp_lt_i32_e32 vcc, -1, v40
	v_cndmask_b32_e32 v2, v47, v6, vcc
	v_cmp_eq_u32_e32 vcc, 0, v3
	v_cndmask_b32_e32 v29, v7, v2, vcc
; %bb.607:                              ;   in Loop: Header=BB2_381 Depth=2
	s_or_b64 exec, exec, s[48:49]
.LBB2_608:                              ;   in Loop: Header=BB2_381 Depth=2
	s_or_b64 exec, exec, s[46:47]
.LBB2_609:                              ;   in Loop: Header=BB2_381 Depth=2
	s_or_b64 exec, exec, s[16:17]
	v_mul_f32_e32 v3, v31, v29
	v_and_b32_sdwa v4, v3, s66 dst_sel:DWORD dst_unused:UNUSED_PAD src0_sel:BYTE_3 src1_sel:DWORD
	v_and_b32_e32 v16, 0x7f800000, v3
	v_mov_b32_e32 v17, v41
	v_and_b32_e32 v40, 0x7fffff, v3
	v_or_b32_e32 v2, 0x7b, v4
	v_cmp_ne_u64_e32 vcc, s[38:39], v[16:17]
	s_and_saveexec_b64 s[16:17], vcc
	s_xor_b64 s[46:47], exec, s[16:17]
	s_cbranch_execz .LBB2_619
; %bb.610:                              ;   in Loop: Header=BB2_381 Depth=2
	v_and_b32_e32 v16, 0x7fffffff, v3
	v_mov_b32_e32 v17, v41
	v_cmp_gt_u64_e32 vcc, s[40:41], v[16:17]
	s_and_saveexec_b64 s[48:49], vcc
	s_cbranch_execz .LBB2_618
; %bb.611:                              ;   in Loop: Header=BB2_381 Depth=2
	v_cmp_ne_u32_e32 vcc, 0, v3
	v_mov_b32_e32 v2, 0
	s_and_saveexec_b64 s[50:51], vcc
	s_cbranch_execz .LBB2_617
; %bb.612:                              ;   in Loop: Header=BB2_381 Depth=2
	v_bfe_u32 v2, v3, 23, 8
	v_sub_u32_e32 v10, 0x71, v2
	v_cmp_gt_u32_e32 vcc, s67, v2
	v_cndmask_b32_e32 v10, 0, v10, vcc
	v_cmp_eq_u32_e32 vcc, 0, v2
	v_or_b32_e32 v16, 0x800000, v40
	v_cndmask_b32_e32 v10, v10, v55, vcc
	v_add_u32_e32 v3, 0xffffff81, v2
	v_cndmask_b32_e32 v40, v16, v40, vcc
	v_add_u32_e32 v2, 21, v10
	v_cndmask_b32_e32 v22, v3, v54, vcc
	v_lshlrev_b64 v[2:3], v2, -1
	v_lshrrev_b64 v[32:33], v10, v[40:41]
	v_not_b32_e32 v3, v3
	v_not_b32_e32 v2, v2
	v_add_u32_e32 v16, 20, v10
	v_lshrrev_b32_e32 v23, 23, v32
	v_and_b32_e32 v3, 0, v3
	v_and_b32_e32 v2, v40, v2
	v_lshlrev_b64 v[16:17], v16, 1
	v_add3_u32 v23, v10, v22, v23
	v_bfe_u32 v10, v32, 21, 1
	v_add_u32_e32 v10, -1, v10
	v_cmp_eq_u64_e32 vcc, v[2:3], v[16:17]
	v_cndmask_b32_e32 v2, 0, v10, vcc
	v_add_u32_e32 v2, v2, v32
	v_and_b32_e32 v2, 0x1fffff, v2
	v_add_co_u32_e32 v2, vcc, v2, v32
	v_add_u32_e32 v22, 14, v23
	v_addc_co_u32_e32 v3, vcc, 0, v33, vcc
	v_cmp_ne_u32_e32 vcc, 0, v22
                                        ; implicit-def: $vgpr10
	s_and_saveexec_b64 s[16:17], vcc
	s_xor_b64 s[16:17], exec, s[16:17]
; %bb.613:                              ;   in Loop: Header=BB2_381 Depth=2
	v_cmp_lt_u64_e32 vcc, s[42:43], v[2:3]
	v_add_u32_e32 v10, 15, v23
	v_cndmask_b32_e64 v16, 0, 1, vcc
	v_cndmask_b32_e32 v10, v22, v10, vcc
	v_lshrrev_b64 v[2:3], v16, v[2:3]
; %bb.614:                              ;   in Loop: Header=BB2_381 Depth=2
	s_andn2_saveexec_b64 s[16:17], s[16:17]
; %bb.615:                              ;   in Loop: Header=BB2_381 Depth=2
	v_bfe_u32 v10, v2, 23, 1
; %bb.616:                              ;   in Loop: Header=BB2_381 Depth=2
	s_or_b64 exec, exec, s[16:17]
	v_lshrrev_b64 v[2:3], 21, v[2:3]
	v_cmp_gt_i32_e32 vcc, 32, v10
	v_cndmask_b32_e32 v3, 0, v3, vcc
	v_cndmask_b32_e32 v2, 3, v2, vcc
	v_cmp_eq_u64_e64 s[16:17], 0, v[2:3]
	v_min_i32_e32 v3, 31, v10
	v_lshlrev_b32_e32 v3, 2, v3
	v_cmp_eq_u32_e32 vcc, 0, v10
	v_and_b32_e32 v3, 0xfc, v3
	v_and_or_b32 v2, v2, 3, v3
	s_and_b64 s[16:17], vcc, s[16:17]
	v_cndmask_b32_e64 v2, v2, 0, s[16:17]
	v_or_b32_e32 v2, v2, v4
.LBB2_617:                              ;   in Loop: Header=BB2_381 Depth=2
	s_or_b64 exec, exec, s[50:51]
.LBB2_618:                              ;   in Loop: Header=BB2_381 Depth=2
	s_or_b64 exec, exec, s[48:49]
                                        ; implicit-def: $vgpr3
.LBB2_619:                              ;   in Loop: Header=BB2_381 Depth=2
	s_andn2_saveexec_b64 s[16:17], s[46:47]
; %bb.620:                              ;   in Loop: Header=BB2_381 Depth=2
	v_or_b32_sdwa v3, v3, s68 dst_sel:DWORD dst_unused:UNUSED_PAD src0_sel:BYTE_3 src1_sel:DWORD
	v_cmp_eq_u64_e32 vcc, 0, v[40:41]
	v_cndmask_b32_e32 v2, v3, v2, vcc
; %bb.621:                              ;   in Loop: Header=BB2_381 Depth=2
	s_or_b64 exec, exec, s[16:17]
	v_lshlrev_b32_e32 v3, 8, v27
	v_lshlrev_b32_e32 v2, 24, v2
	;; [unrolled: 1-line block ×3, first 2 shown]
	v_perm_b32 v3, v3, v5, s71
	v_cmp_lt_u32_e32 vcc, 7, v60
	v_or3_b32 v3, v2, v3, v4
	v_cndmask_b32_e64 v2, 0, 1, vcc
	;;#ASMSTART
	;;#ASMEND
	v_cmp_ne_u32_e64 s[16:17], 0, v2
	s_cmp_lg_u64 s[16:17], exec
	s_mov_b64 s[16:17], -1
	s_cbranch_scc0 .LBB2_631
; %bb.622:                              ;   in Loop: Header=BB2_381 Depth=2
	v_cmp_ne_u32_e64 s[16:17], 1, v60
	flat_store_byte v[0:1], v8
	s_and_saveexec_b64 s[46:47], s[16:17]
	s_cbranch_execnz .LBB2_633
; %bb.623:                              ;   in Loop: Header=BB2_381 Depth=2
	s_or_b64 exec, exec, s[46:47]
	v_cmp_lt_u32_e64 s[16:17], 2, v60
	s_and_saveexec_b64 s[46:47], s[16:17]
	s_cbranch_execnz .LBB2_634
.LBB2_624:                              ;   in Loop: Header=BB2_381 Depth=2
	s_or_b64 exec, exec, s[46:47]
	v_cmp_lt_u32_e64 s[16:17], 3, v60
	s_and_saveexec_b64 s[46:47], s[16:17]
	s_cbranch_execnz .LBB2_635
.LBB2_625:                              ;   in Loop: Header=BB2_381 Depth=2
	s_or_b64 exec, exec, s[46:47]
	v_cmp_lt_u32_e64 s[16:17], 4, v60
	s_and_saveexec_b64 s[46:47], s[16:17]
	s_cbranch_execnz .LBB2_636
.LBB2_626:                              ;   in Loop: Header=BB2_381 Depth=2
	s_or_b64 exec, exec, s[46:47]
	v_cmp_lt_u32_e64 s[16:17], 5, v60
	s_and_saveexec_b64 s[46:47], s[16:17]
	s_cbranch_execnz .LBB2_637
.LBB2_627:                              ;   in Loop: Header=BB2_381 Depth=2
	s_or_b64 exec, exec, s[46:47]
	v_cmp_lt_u32_e64 s[16:17], 6, v60
	s_and_saveexec_b64 s[46:47], s[16:17]
	s_cbranch_execnz .LBB2_638
.LBB2_628:                              ;   in Loop: Header=BB2_381 Depth=2
	s_or_b64 exec, exec, s[46:47]
	s_and_saveexec_b64 s[16:17], vcc
	s_cbranch_execz .LBB2_630
.LBB2_629:                              ;   in Loop: Header=BB2_381 Depth=2
	v_lshrrev_b32_e32 v2, 24, v3
	flat_store_byte v[0:1], v2 offset:7
.LBB2_630:                              ;   in Loop: Header=BB2_381 Depth=2
	s_or_b64 exec, exec, s[16:17]
	s_mov_b64 s[16:17], 0
.LBB2_631:                              ;   in Loop: Header=BB2_381 Depth=2
	s_and_b64 vcc, exec, s[16:17]
	s_cbranch_vccz .LBB2_380
; %bb.632:                              ;   in Loop: Header=BB2_381 Depth=2
	v_perm_b32 v4, v11, v21, s72
	v_lshlrev_b32_e32 v2, 8, v9
	v_perm_b32 v4, v4, v8, s73
	v_and_or_b32 v2, v2, s74, v4
	global_store_dwordx2 v[0:1], v[2:3], off
	s_branch .LBB2_380
.LBB2_633:                              ;   in Loop: Header=BB2_381 Depth=2
	flat_store_byte v[0:1], v9 offset:1
	s_or_b64 exec, exec, s[46:47]
	v_cmp_lt_u32_e64 s[16:17], 2, v60
	s_and_saveexec_b64 s[46:47], s[16:17]
	s_cbranch_execz .LBB2_624
.LBB2_634:                              ;   in Loop: Header=BB2_381 Depth=2
	flat_store_byte v[0:1], v21 offset:2
	s_or_b64 exec, exec, s[46:47]
	v_cmp_lt_u32_e64 s[16:17], 3, v60
	s_and_saveexec_b64 s[46:47], s[16:17]
	s_cbranch_execz .LBB2_625
.LBB2_635:                              ;   in Loop: Header=BB2_381 Depth=2
	flat_store_byte v[0:1], v11 offset:3
	s_or_b64 exec, exec, s[46:47]
	v_cmp_lt_u32_e64 s[16:17], 4, v60
	s_and_saveexec_b64 s[46:47], s[16:17]
	s_cbranch_execz .LBB2_626
.LBB2_636:                              ;   in Loop: Header=BB2_381 Depth=2
	flat_store_byte v[0:1], v5 offset:4
	s_or_b64 exec, exec, s[46:47]
	v_cmp_lt_u32_e64 s[16:17], 5, v60
	s_and_saveexec_b64 s[46:47], s[16:17]
	s_cbranch_execz .LBB2_627
.LBB2_637:                              ;   in Loop: Header=BB2_381 Depth=2
	flat_store_byte v[0:1], v27 offset:5
	s_or_b64 exec, exec, s[46:47]
	v_cmp_lt_u32_e64 s[16:17], 6, v60
	s_and_saveexec_b64 s[46:47], s[16:17]
	s_cbranch_execz .LBB2_628
.LBB2_638:                              ;   in Loop: Header=BB2_381 Depth=2
	flat_store_byte v[0:1], v28 offset:6
	s_or_b64 exec, exec, s[46:47]
	s_and_saveexec_b64 s[16:17], vcc
	s_cbranch_execnz .LBB2_629
	s_branch .LBB2_630
.LBB2_639:                              ;   in Loop: Header=BB2_21 Depth=1
	s_or_b64 exec, exec, s[44:45]
	v_accvgpr_read_b32 v51, a5
	v_accvgpr_read_b32 v33, a11
	;; [unrolled: 1-line block ×12, first 2 shown]
	s_or_b64 exec, exec, s[18:19]
	s_and_saveexec_b64 s[16:17], s[10:11]
	s_cbranch_execz .LBB2_378
.LBB2_640:                              ;   in Loop: Header=BB2_21 Depth=1
	s_and_saveexec_b64 s[18:19], s[28:29]
	s_xor_b64 s[18:19], exec, s[18:19]
	s_cbranch_execz .LBB2_655
; %bb.641:                              ;   in Loop: Header=BB2_21 Depth=1
	s_and_saveexec_b64 s[44:45], s[12:13]
	s_cbranch_execz .LBB2_654
; %bb.642:                              ;   in Loop: Header=BB2_21 Depth=1
	s_mov_b64 s[48:49], exec
	v_mbcnt_lo_u32_b32 v0, s48, 0
	v_mbcnt_hi_u32_b32 v0, s49, v0
	v_cmp_eq_u32_e32 vcc, 0, v0
	s_waitcnt vmcnt(0) lgkmcnt(0)
	buffer_wbinvl1_vol
	s_and_saveexec_b64 s[46:47], vcc
	s_cbranch_execz .LBB2_644
; %bb.643:                              ;   in Loop: Header=BB2_21 Depth=1
	s_bcnt1_i32_b64 vcc_lo, s[48:49]
	v_mov_b32_e32 v40, vcc_lo
	ds_add_u64 v0, v[40:41]
	s_trap 2
.LBB2_644:                              ;   in Loop: Header=BB2_21 Depth=1
	s_or_b64 exec, exec, s[46:47]
	s_trap 2
	ds_read_b64 v[0:1], v0
	v_accvgpr_read_b32 v2, a30
	v_add_co_u32_e32 v42, vcc, v42, v2
	v_accvgpr_read_b32 v3, a41
	v_addc_co_u32_e32 v43, vcc, v43, v3, vcc
	s_waitcnt lgkmcnt(0)
	v_cmp_lt_u64_e32 vcc, v[0:1], v[42:43]
	s_and_saveexec_b64 s[46:47], vcc
	s_cbranch_execz .LBB2_653
; %bb.645:                              ;   in Loop: Header=BB2_21 Depth=1
	s_mov_b32 s58, 0
	s_mov_b64 s[48:49], 0
                                        ; implicit-def: $sgpr50_sgpr51
                                        ; implicit-def: $sgpr52_sgpr53
	s_branch .LBB2_647
.LBB2_646:                              ;   in Loop: Header=BB2_647 Depth=2
	s_or_b64 exec, exec, s[56:57]
	s_and_b64 vcc, exec, vcc
	s_or_b64 s[48:49], vcc, s[48:49]
	s_andn2_b64 vcc, s[50:51], exec
	s_and_b64 s[50:51], s[52:53], exec
	s_or_b64 s[50:51], vcc, s[50:51]
	s_andn2_b64 exec, exec, s[48:49]
	s_cbranch_execz .LBB2_651
.LBB2_647:                              ;   Parent Loop BB2_21 Depth=1
                                        ; =>  This Inner Loop Header: Depth=2
	s_add_i32 s58, s58, 1
	s_cmpk_lg_i32 s58, 0x2710
	s_cselect_b64 s[54:55], -1, 0
	s_and_b64 vcc, exec, s[54:55]
                                        ; implicit-def: $sgpr56_sgpr57
	s_cbranch_vccnz .LBB2_649
; %bb.648:                              ;   in Loop: Header=BB2_647 Depth=2
	s_trap 2
	ds_read_b64 v[0:1], v0
	s_andn2_b64 s[54:55], s[54:55], exec
	s_mov_b32 s58, 0
	s_mov_b64 s[56:57], -1
	s_waitcnt lgkmcnt(0)
	flat_load_dword v0, v[0:1] glc
	s_waitcnt vmcnt(0) lgkmcnt(0)
	buffer_invl2
	buffer_wbinvl1_vol
	v_cmp_eq_u32_e32 vcc, 0, v0
	s_and_b64 vcc, vcc, exec
	s_or_b64 s[54:55], s[54:55], vcc
.LBB2_649:                              ;   in Loop: Header=BB2_647 Depth=2
	s_andn2_b64 s[52:53], s[52:53], exec
	s_and_b64 s[56:57], s[56:57], exec
	s_mov_b64 vcc, -1
	s_or_b64 s[52:53], s[52:53], s[56:57]
	s_and_saveexec_b64 s[56:57], s[54:55]
	s_cbranch_execz .LBB2_646
; %bb.650:                              ;   in Loop: Header=BB2_647 Depth=2
	s_sleep 1
	s_trap 2
	ds_read_b64 v[0:1], v0
	s_andn2_b64 s[52:53], s[52:53], exec
	s_waitcnt lgkmcnt(0)
	v_cmp_ge_u64_e32 vcc, v[0:1], v[42:43]
	s_orn2_b64 vcc, vcc, exec
	s_branch .LBB2_646
.LBB2_651:                              ;   in Loop: Header=BB2_21 Depth=1
	s_or_b64 exec, exec, s[48:49]
	s_and_saveexec_b64 vcc, s[50:51]
	s_xor_b64 vcc, exec, vcc
	s_cbranch_execz .LBB2_653
; %bb.652:                              ;   in Loop: Header=BB2_21 Depth=1
	v_mov_b32_e32 v0, 1
	ds_write_b32 v0, v0
	s_trap 2
.LBB2_653:                              ;   in Loop: Header=BB2_21 Depth=1
	s_or_b64 exec, exec, s[46:47]
	;;#ASMSTART
	s_wakeup
	;;#ASMEND
.LBB2_654:                              ;   in Loop: Header=BB2_21 Depth=1
	s_or_b64 exec, exec, s[44:45]
.LBB2_655:                              ;   in Loop: Header=BB2_21 Depth=1
	s_andn2_saveexec_b64 s[18:19], s[18:19]
	s_cbranch_execz .LBB2_657
; %bb.656:                              ;   in Loop: Header=BB2_21 Depth=1
	s_waitcnt vmcnt(0) lgkmcnt(0)
	buffer_wbinvl1_vol
	s_barrier
.LBB2_657:                              ;   in Loop: Header=BB2_21 Depth=1
	s_or_b64 exec, exec, s[18:19]
	s_or_b64 exec, exec, s[16:17]
	s_and_saveexec_b64 s[16:17], s[14:15]
	s_cbranch_execz .LBB2_20
.LBB2_658:                              ;   in Loop: Header=BB2_21 Depth=1
	v_add_co_u32_e32 v38, vcc, 1, v38
	v_accvgpr_read_b32 v0, a22
	v_addc_co_u32_e32 v39, vcc, 0, v39, vcc
	v_accvgpr_read_b32 v1, a23
	flat_store_dwordx2 v[0:1], v[38:39]
	s_branch .LBB2_20
.LBB2_659:
	s_or_b64 exec, exec, s[26:27]
	v_accvgpr_read_b32 v23, a15
	v_accvgpr_read_b32 v25, a17
	;; [unrolled: 1-line block ×6, first 2 shown]
.LBB2_660:
	s_or_b64 exec, exec, s[24:25]
; %bb.661:
	s_and_saveexec_b64 s[6:7], s[22:23]
	s_cbranch_execnz .LBB2_664
; %bb.662:
	s_or_b64 exec, exec, s[6:7]
	s_and_saveexec_b64 s[6:7], s[4:5]
	s_cbranch_execnz .LBB2_665
.LBB2_663:
	s_or_b64 exec, exec, s[6:7]
	v_cmp_ne_u32_e32 vcc, 64, v20
	s_and_saveexec_b64 s[4:5], vcc
	s_cbranch_execnz .LBB2_666
	s_branch .LBB2_683
.LBB2_664:
	s_waitcnt vmcnt(0) lgkmcnt(0)
	flat_store_dwordx2 v[24:25], v[38:39] offset:104
	s_or_b64 exec, exec, s[6:7]
	s_and_saveexec_b64 s[6:7], s[4:5]
	s_cbranch_execz .LBB2_663
.LBB2_665:
	s_waitcnt vmcnt(0) lgkmcnt(0)
	flat_store_dwordx2 v[22:23], v[14:15] offset:104
	s_or_b64 exec, exec, s[6:7]
	v_cmp_ne_u32_e32 vcc, 64, v20
	s_and_saveexec_b64 s[4:5], vcc
	s_cbranch_execz .LBB2_683
.LBB2_666:
	v_cmp_ne_u32_sdwa s[6:7], v16, v20 src0_sel:WORD_0 src1_sel:DWORD
	s_and_saveexec_b64 s[8:9], s[6:7]
	s_xor_b64 s[6:7], exec, s[8:9]
	s_cbranch_execz .LBB2_681
; %bb.667:
	v_and_b32_e32 v0, 63, v31
	v_cmp_eq_u32_e32 vcc, 0, v0
	s_and_saveexec_b64 s[8:9], vcc
	s_cbranch_execz .LBB2_680
; %bb.668:
	s_mov_b64 s[12:13], exec
	v_mbcnt_lo_u32_b32 v0, s12, 0
	v_mbcnt_hi_u32_b32 v0, s13, v0
	v_cmp_eq_u32_e32 vcc, 0, v0
	s_waitcnt vmcnt(0) lgkmcnt(0)
	buffer_wbinvl1_vol
	s_and_saveexec_b64 s[10:11], vcc
	s_cbranch_execz .LBB2_670
; %bb.669:
	s_bcnt1_i32_b64 s12, s[12:13]
	v_mov_b32_e32 v0, s12
	v_mov_b32_e32 v1, 0
	ds_add_u64 v0, v[0:1]
	s_trap 2
.LBB2_670:
	s_or_b64 exec, exec, s[10:11]
	v_ashrrev_i32_e32 v0, 31, v20
	v_lshrrev_b32_e32 v0, 26, v0
	v_add_u32_e32 v0, v20, v0
	v_ashrrev_i32_e32 v0, 6, v0
	s_trap 2
	ds_read_b64 v[2:3], v0
	v_ashrrev_i32_e32 v1, 31, v0
	v_add_co_u32_e32 v0, vcc, v42, v0
	v_addc_co_u32_e32 v1, vcc, v43, v1, vcc
	s_waitcnt lgkmcnt(0)
	v_cmp_lt_u64_e32 vcc, v[2:3], v[0:1]
	s_and_saveexec_b64 s[10:11], vcc
	s_cbranch_execz .LBB2_679
; %bb.671:
	s_mov_b32 s24, 0
	s_mov_b64 s[12:13], 0
                                        ; implicit-def: $sgpr14_sgpr15
                                        ; implicit-def: $sgpr16_sgpr17
	s_branch .LBB2_673
.LBB2_672:                              ;   in Loop: Header=BB2_673 Depth=1
	s_or_b64 exec, exec, s[22:23]
	s_and_b64 s[18:19], exec, s[20:21]
	s_or_b64 s[12:13], s[18:19], s[12:13]
	s_andn2_b64 s[14:15], s[14:15], exec
	s_and_b64 s[18:19], s[16:17], exec
	s_or_b64 s[14:15], s[14:15], s[18:19]
	s_andn2_b64 exec, exec, s[12:13]
	s_cbranch_execz .LBB2_677
.LBB2_673:                              ; =>This Inner Loop Header: Depth=1
	s_add_i32 s24, s24, 1
	s_cmpk_lg_i32 s24, 0x2710
	s_cselect_b64 s[18:19], -1, 0
	s_and_b64 vcc, exec, s[18:19]
                                        ; implicit-def: $sgpr22_sgpr23
	s_cbranch_vccnz .LBB2_675
; %bb.674:                              ;   in Loop: Header=BB2_673 Depth=1
	s_trap 2
	ds_read_b64 v[2:3], v0
	s_andn2_b64 s[18:19], s[18:19], exec
	s_mov_b32 s24, 0
	s_mov_b64 s[22:23], -1
	s_waitcnt lgkmcnt(0)
	flat_load_dword v2, v[2:3] glc
	s_waitcnt vmcnt(0) lgkmcnt(0)
	buffer_invl2
	buffer_wbinvl1_vol
	v_cmp_eq_u32_e32 vcc, 0, v2
	s_and_b64 s[20:21], vcc, exec
	s_or_b64 s[18:19], s[18:19], s[20:21]
.LBB2_675:                              ;   in Loop: Header=BB2_673 Depth=1
	s_andn2_b64 s[16:17], s[16:17], exec
	s_and_b64 s[22:23], s[22:23], exec
	s_mov_b64 s[20:21], -1
	s_or_b64 s[16:17], s[16:17], s[22:23]
	s_and_saveexec_b64 s[22:23], s[18:19]
	s_cbranch_execz .LBB2_672
; %bb.676:                              ;   in Loop: Header=BB2_673 Depth=1
	s_sleep 1
	s_trap 2
	ds_read_b64 v[2:3], v0
	s_andn2_b64 s[16:17], s[16:17], exec
	s_waitcnt lgkmcnt(0)
	v_cmp_ge_u64_e32 vcc, v[2:3], v[0:1]
	s_orn2_b64 s[20:21], vcc, exec
	s_branch .LBB2_672
.LBB2_677:
	s_or_b64 exec, exec, s[12:13]
	s_and_saveexec_b64 s[12:13], s[14:15]
	s_xor_b64 s[12:13], exec, s[12:13]
	s_cbranch_execz .LBB2_679
; %bb.678:
	v_mov_b32_e32 v0, 1
	ds_write_b32 v0, v0
	s_trap 2
.LBB2_679:
	s_or_b64 exec, exec, s[10:11]
	;;#ASMSTART
	s_wakeup
	;;#ASMEND
.LBB2_680:
	s_or_b64 exec, exec, s[8:9]
.LBB2_681:
	s_andn2_saveexec_b64 s[6:7], s[6:7]
	s_cbranch_execz .LBB2_683
; %bb.682:
	s_waitcnt vmcnt(0) lgkmcnt(0)
	buffer_wbinvl1_vol
	s_barrier
.LBB2_683:
	s_or_b64 exec, exec, s[4:5]
	buffer_load_dword a49, off, s[0:3], s32 ; 4-byte Folded Reload
	buffer_load_dword a48, off, s[0:3], s32 offset:4 ; 4-byte Folded Reload
	buffer_load_dword a46, off, s[0:3], s32 offset:8 ; 4-byte Folded Reload
	;; [unrolled: 1-line block ×31, first 2 shown]
	v_readlane_b32 s30, v63, 43
	v_readlane_b32 s31, v63, 44
	;; [unrolled: 1-line block ×45, first 2 shown]
	s_or_saveexec_b64 s[4:5], -1
	buffer_load_dword v63, off, s[0:3], s32 offset:128 ; 4-byte Folded Reload
	s_mov_b64 exec, s[4:5]
	s_waitcnt vmcnt(0) lgkmcnt(0)
	s_setpc_b64 s[30:31]
.Lfunc_end2:
	.size	_ZN12_GLOBAL__N_17runRingI14__hip_fp8_e5m28FuncProdIS1_E7ProtoLLLi0ELi2ELi0EEEviiP15ncclDevWorkColl, .Lfunc_end2-_ZN12_GLOBAL__N_17runRingI14__hip_fp8_e5m28FuncProdIS1_E7ProtoLLLi0ELi2ELi0EEEviiP15ncclDevWorkColl
                                        ; -- End function
	.section	.AMDGPU.csdata,"",@progbits
; Function info:
; codeLenInByte = 21912
; NumSgprs: 81
; NumVgprs: 64
; NumAgprs: 50
; TotalNumVgprs: 114
; ScratchSize: 136
; MemoryBound: 0
	.text
	.p2align	2                               ; -- Begin function _Z51ncclDevFunc_ReduceScatter_RING_LL_Prod_f8e5m2_0_0_2v
	.type	_Z51ncclDevFunc_ReduceScatter_RING_LL_Prod_f8e5m2_0_0_2v,@function
_Z51ncclDevFunc_ReduceScatter_RING_LL_Prod_f8e5m2_0_0_2v: ; @_Z51ncclDevFunc_ReduceScatter_RING_LL_Prod_f8e5m2_0_0_2v
; %bb.0:
	s_waitcnt vmcnt(0) expcnt(0) lgkmcnt(0)
	s_mov_b32 s4, s33
	s_mov_b32 s33, s32
	s_or_saveexec_b64 s[6:7], -1
	buffer_store_dword v43, off, s[0:3], s33 offset:16 ; 4-byte Folded Spill
	s_mov_b64 exec, s[6:7]
	v_writelane_b32 v43, s4, 53
	s_addk_i32 s32, 0x800
	buffer_store_dword v40, off, s[0:3], s33 offset:12 ; 4-byte Folded Spill
	buffer_store_dword v41, off, s[0:3], s33 offset:8 ; 4-byte Folded Spill
	;; [unrolled: 1-line block ×3, first 2 shown]
	buffer_store_dword v63, off, s[0:3], s33 ; 4-byte Folded Spill
	v_writelane_b32 v43, s34, 0
	v_writelane_b32 v43, s35, 1
	v_writelane_b32 v43, s36, 2
	v_writelane_b32 v43, s37, 3
	v_writelane_b32 v43, s38, 4
	v_writelane_b32 v43, s39, 5
	v_writelane_b32 v43, s40, 6
	v_writelane_b32 v43, s41, 7
	v_writelane_b32 v43, s42, 8
	v_writelane_b32 v43, s43, 9
	v_writelane_b32 v43, s44, 10
	v_writelane_b32 v43, s45, 11
	v_writelane_b32 v43, s46, 12
	v_writelane_b32 v43, s47, 13
	v_writelane_b32 v43, s48, 14
	v_writelane_b32 v43, s49, 15
	v_writelane_b32 v43, s50, 16
	v_writelane_b32 v43, s51, 17
	v_writelane_b32 v43, s52, 18
	v_writelane_b32 v43, s53, 19
	v_writelane_b32 v43, s54, 20
	v_writelane_b32 v43, s55, 21
	v_writelane_b32 v43, s56, 22
	v_writelane_b32 v43, s57, 23
	v_writelane_b32 v43, s58, 24
	v_writelane_b32 v43, s59, 25
	v_writelane_b32 v43, s60, 26
	v_writelane_b32 v43, s61, 27
	v_writelane_b32 v43, s62, 28
	v_writelane_b32 v43, s63, 29
	v_writelane_b32 v43, s64, 30
	v_writelane_b32 v43, s65, 31
	v_writelane_b32 v43, s66, 32
	v_writelane_b32 v43, s67, 33
	v_writelane_b32 v43, s68, 34
	v_writelane_b32 v43, s69, 35
	v_writelane_b32 v43, s70, 36
	v_writelane_b32 v43, s71, 37
	v_writelane_b32 v43, s72, 38
	v_writelane_b32 v43, s73, 39
	v_writelane_b32 v43, s74, 40
	v_writelane_b32 v43, s75, 41
	v_writelane_b32 v43, s76, 42
	v_writelane_b32 v43, s77, 43
	v_writelane_b32 v43, s78, 44
	v_writelane_b32 v43, s79, 45
	v_writelane_b32 v43, s80, 46
	v_writelane_b32 v43, s81, 47
	v_writelane_b32 v43, s82, 48
	v_writelane_b32 v43, s83, 49
	v_writelane_b32 v43, s84, 50
	v_writelane_b32 v43, s30, 51
	v_writelane_b32 v43, s31, 52
	s_trap 2
	ds_read_b32 v0, v0
	v_mov_b32_e32 v40, v31
	s_mov_b32 s77, s12
	s_mov_b64 s[78:79], s[8:9]
	s_waitcnt lgkmcnt(0)
	v_cmp_gt_i32_e32 vcc, 1, v0
	s_cbranch_vccnz .LBB3_8
; %bb.1:
	s_mov_b32 s84, 0
	v_and_b32_e32 v41, 0x3ff, v40
	s_mov_b64 s[80:81], src_shared_base
	v_mov_b32_e32 v42, 6
	s_branch .LBB3_3
.LBB3_2:                                ;   in Loop: Header=BB3_3 Depth=1
	s_or_b64 exec, exec, s[82:83]
	s_trap 2
	ds_read_b32 v0, v0
	s_add_i32 s84, s84, 1
	s_waitcnt lgkmcnt(0)
	v_cmp_lt_i32_e32 vcc, s84, v0
	s_cbranch_vccz .LBB3_8
.LBB3_3:                                ; =>This Inner Loop Header: Depth=1
	s_trap 2
	ds_read_b32 v0, v0
	s_cmp_eq_u32 s84, 0
	s_cbranch_scc1 .LBB3_6
; %bb.4:                                ;   in Loop: Header=BB3_3 Depth=1
	s_trap 2
	s_waitcnt lgkmcnt(0)
	ds_read_b32 v1, v0
	s_waitcnt lgkmcnt(0)
	v_xor_b32_e32 v1, v1, v0
	v_and_b32_e32 v1, 0xff0000, v1
	v_cmp_eq_u32_e32 vcc, 0, v1
	s_cbranch_vccnz .LBB3_6
; %bb.5:                                ;   in Loop: Header=BB3_3 Depth=1
	s_barrier
	ds_read_b32 v0, v0
.LBB3_6:                                ;   in Loop: Header=BB3_3 Depth=1
	s_waitcnt lgkmcnt(0)
	v_lshlrev_b32_sdwa v1, v42, v0 dst_sel:DWORD dst_unused:UNUSED_PAD src0_sel:DWORD src1_sel:BYTE_2
	v_cmp_lt_u32_e32 vcc, v41, v1
	s_and_saveexec_b64 s[82:83], vcc
	s_cbranch_execz .LBB3_2
; %bb.7:                                ;   in Loop: Header=BB3_3 Depth=1
	s_mov_b64 s[8:9], s[78:79]
	s_mov_b32 s12, s77
	v_mov_b32_e32 v31, v40
	v_mov_b32_e32 v0, v41
	;; [unrolled: 1-line block ×3, first 2 shown]
	s_getpc_b64 s[4:5]
	s_add_u32 s4, s4, _ZN12_GLOBAL__N_17runRingI14__hip_fp8_e5m28FuncProdIS1_E7ProtoLLLi0ELi2ELi0EEEviiP15ncclDevWorkColl@rel32@lo+4
	s_addc_u32 s5, s5, _ZN12_GLOBAL__N_17runRingI14__hip_fp8_e5m28FuncProdIS1_E7ProtoLLLi0ELi2ELi0EEEviiP15ncclDevWorkColl@rel32@hi+12
	s_swappc_b64 s[30:31], s[4:5]
	s_branch .LBB3_2
.LBB3_8:
	buffer_load_dword v63, off, s[0:3], s33 ; 4-byte Folded Reload
	buffer_load_dword v42, off, s[0:3], s33 offset:4 ; 4-byte Folded Reload
	buffer_load_dword v41, off, s[0:3], s33 offset:8 ; 4-byte Folded Reload
	buffer_load_dword v40, off, s[0:3], s33 offset:12 ; 4-byte Folded Reload
	v_readlane_b32 s30, v43, 51
	v_readlane_b32 s31, v43, 52
	;; [unrolled: 1-line block ×54, first 2 shown]
	s_or_saveexec_b64 s[6:7], -1
	buffer_load_dword v43, off, s[0:3], s33 offset:16 ; 4-byte Folded Reload
	s_mov_b64 exec, s[6:7]
	s_addk_i32 s32, 0xf800
	s_mov_b32 s33, s4
	s_waitcnt vmcnt(0)
	s_setpc_b64 s[30:31]
.Lfunc_end3:
	.size	_Z51ncclDevFunc_ReduceScatter_RING_LL_Prod_f8e5m2_0_0_2v, .Lfunc_end3-_Z51ncclDevFunc_ReduceScatter_RING_LL_Prod_f8e5m2_0_0_2v
                                        ; -- End function
	.section	.AMDGPU.csdata,"",@progbits
; Function info:
; codeLenInByte = 1228
; NumSgprs: 89
; NumVgprs: 64
; NumAgprs: 50
; TotalNumVgprs: 114
; ScratchSize: 168
; MemoryBound: 0
	.text
	.p2align	2                               ; -- Begin function _ZN12_GLOBAL__N_17runRingI14__hip_fp8_e5m28FuncProdIS1_E7ProtoLLLi0ELi4ELi0EEEviiP15ncclDevWorkColl
	.type	_ZN12_GLOBAL__N_17runRingI14__hip_fp8_e5m28FuncProdIS1_E7ProtoLLLi0ELi4ELi0EEEviiP15ncclDevWorkColl,@function
_ZN12_GLOBAL__N_17runRingI14__hip_fp8_e5m28FuncProdIS1_E7ProtoLLLi0ELi4ELi0EEEviiP15ncclDevWorkColl: ; @_ZN12_GLOBAL__N_17runRingI14__hip_fp8_e5m28FuncProdIS1_E7ProtoLLLi0ELi4ELi0EEEviiP15ncclDevWorkColl
; %bb.0:
	s_waitcnt vmcnt(0) expcnt(0) lgkmcnt(0)
	s_or_saveexec_b64 s[4:5], -1
	buffer_store_dword v63, off, s[0:3], s32 offset:128 ; 4-byte Folded Spill
	s_mov_b64 exec, s[4:5]
	buffer_store_dword v40, off, s[0:3], s32 offset:124 ; 4-byte Folded Spill
	buffer_store_dword v41, off, s[0:3], s32 offset:120 ; 4-byte Folded Spill
	;; [unrolled: 1-line block ×31, first 2 shown]
	buffer_store_dword a49, off, s[0:3], s32 ; 4-byte Folded Spill
	v_writelane_b32 v63, s34, 0
	v_writelane_b32 v63, s35, 1
	;; [unrolled: 1-line block ×45, first 2 shown]
	s_trap 2
	flat_load_dword v7, v[2:3]
	flat_load_dwordx4 v[48:51], v[2:3] offset:72
	flat_load_dwordx2 v[10:11], v[2:3] offset:88
	ds_read_b32 v5, v0
	ds_read_b64 a[6:7], v0
	v_mov_b32_e32 v20, v1
                                        ; implicit-def: $vgpr26_vgpr27
                                        ; implicit-def: $agpr8_agpr9
	s_waitcnt lgkmcnt(0)
	v_readfirstlane_b32 s20, v5
	s_waitcnt vmcnt(0)
	v_not_b32_sdwa v6, v7 dst_sel:DWORD dst_unused:UNUSED_PAD src0_sel:BYTE_0
	v_add_u32_sdwa v4, v7, v6 dst_sel:DWORD dst_unused:UNUSED_PAD src0_sel:BYTE_1 src1_sel:DWORD
	v_ashrrev_i32_e32 v8, 31, v4
	v_mul_lo_u32 v9, v51, v4
	v_mad_u64_u32 v[18:19], s[4:5], v50, v4, 0
	v_mul_lo_u32 v4, v50, v8
	v_add3_u32 v4, v19, v4, v9
	v_cmp_ne_u32_sdwa s[4:5], v7, v5 src0_sel:BYTE_0 src1_sel:DWORD
	s_and_saveexec_b64 s[6:7], s[4:5]
	s_xor_b64 s[4:5], exec, s[6:7]
	s_cbranch_execz .LBB4_6
; %bb.1:
	v_cmp_ne_u32_sdwa s[6:7], v7, v5 src0_sel:BYTE_1 src1_sel:DWORD
                                        ; implicit-def: $vgpr26_vgpr27
                                        ; implicit-def: $agpr8_agpr9
	s_and_saveexec_b64 s[10:11], s[6:7]
	s_xor_b64 s[6:7], exec, s[10:11]
	s_cbranch_execz .LBB4_3
; %bb.2:
	flat_load_dwordx2 v[8:9], v[2:3] offset:96
	v_add_u32_e32 v5, v5, v6
	v_ashrrev_i32_e32 v6, 31, v5
	v_mul_lo_u32 v6, v50, v6
	v_mul_lo_u32 v7, v51, v5
	v_mad_u64_u32 v[12:13], s[10:11], v50, v5, v[48:49]
	v_add3_u32 v13, v7, v13, v6
	v_accvgpr_write_b32 a8, v12
	v_accvgpr_write_b32 a9, v13
	s_waitcnt vmcnt(0) lgkmcnt(0)
	v_lshrrev_b64 v[26:27], 17, v[8:9]
.LBB4_3:
	s_andn2_saveexec_b64 s[6:7], s[6:7]
	s_cbranch_execz .LBB4_5
; %bb.4:
	flat_load_dword v5, v[2:3] offset:100
	v_add_co_u32_e32 v6, vcc, v18, v48
	v_addc_co_u32_e32 v7, vcc, v4, v49, vcc
	v_accvgpr_write_b32 a9, v7
	v_accvgpr_write_b32 a8, v6
	v_pk_mov_b32 v[50:51], v[10:11], v[10:11] op_sel:[0,1]
	s_waitcnt vmcnt(0) lgkmcnt(0)
	v_lshrrev_b32_e32 v26, 6, v5
.LBB4_5:
	s_or_b64 exec, exec, s[6:7]
.LBB4_6:
	s_andn2_saveexec_b64 s[4:5], s[4:5]
	s_cbranch_execz .LBB4_8
; %bb.7:
	flat_load_dwordx2 v[6:7], v[2:3] offset:96
	v_pk_mov_b32 v[8:9], 0, 0
	v_accvgpr_write_b32 a8, v8
	v_accvgpr_write_b32 a9, v9
	v_pk_mov_b32 v[50:51], v[48:49], v[48:49] op_sel:[0,1]
	s_waitcnt vmcnt(0) lgkmcnt(0)
	v_lshlrev_b64 v[26:27], 4, v[6:7]
.LBB4_8:
	s_or_b64 exec, exec, s[4:5]
	flat_load_ushort v7, v[2:3] offset:8
	flat_load_dword v6, v[2:3] offset:4
	s_load_dword s4, s[8:9], 0x0
	flat_load_dwordx4 a[10:13], v[2:3] offset:16
	v_mov_b32_e32 v3, 0
	v_ashrrev_i32_e32 v1, 31, v0
	v_lshrrev_b32_e32 v2, 26, v1
	s_waitcnt lgkmcnt(0)
	s_cmp_lt_u32 s12, s4
	s_cselect_b32 s4, 12, 18
	s_add_u32 s4, s8, s4
	s_addc_u32 s5, s9, 0
	global_load_ushort v16, v3, s[4:5]
	v_add_u32_e32 v5, v0, v2
	s_trap 2
	ds_read_b32 v2, v0
	v_and_b32_e32 v5, 0xffffffc0, v5
	v_accvgpr_write_b32 a3, v1
	v_sub_u32_e32 v5, v0, v5
	v_accvgpr_write_b32 a2, v0
	s_waitcnt lgkmcnt(0)
	v_cmp_gt_i32_e32 vcc, 0, v2
	s_mov_b32 s6, 0
	v_readfirstlane_b32 s8, v2
	s_and_b64 vcc, exec, vcc
	v_pk_mov_b32 v[22:23], 0, 0
	v_cmp_eq_u32_e64 s[4:5], 0, v5
	s_waitcnt vmcnt(0)
	v_lshrrev_b64 v[6:7], 31, v[6:7]
	v_and_b32_e32 v6, 3, v6
	s_cbranch_vccnz .LBB4_10
; %bb.9:
	s_trap 2
	ds_read_b64 v[8:9], v0
	v_lshlrev_b64 v[2:3], 3, v[2:3]
	v_and_b32_e32 v7, 0xffff, v6
	s_movk_i32 s6, 0xa8
	s_waitcnt lgkmcnt(0)
	v_add_co_u32_e32 v2, vcc, v8, v2
	v_addc_co_u32_e32 v3, vcc, v9, v3, vcc
	flat_load_dwordx2 v[2:3], v[2:3]
	s_waitcnt vmcnt(0) lgkmcnt(0)
	v_mad_u64_u32 v[2:3], s[6:7], v7, s6, v[2:3]
	flat_load_dwordx2 a[18:19], v[2:3] offset:504
	flat_load_dwordx2 v[34:35], v[2:3] offset:608
	v_add_co_u32_e32 v2, vcc, 0x1f8, v2
	v_addc_co_u32_e32 v3, vcc, 0, v3, vcc
	v_cndmask_b32_e64 v25, 0, v3, s[4:5]
	v_cndmask_b32_e64 v24, 0, v2, s[4:5]
	s_mov_b32 s6, 1
	s_branch .LBB4_11
.LBB4_10:
	v_pk_mov_b32 v[24:25], v[22:23], v[22:23] op_sel:[0,1]
                                        ; implicit-def: $vgpr34_vgpr35
                                        ; implicit-def: $agpr18_agpr19
.LBB4_11:
	s_trap 2
	ds_read_b32 v2, v0
	s_waitcnt lgkmcnt(0)
	v_cmp_gt_i32_e32 vcc, 0, v2
	s_cbranch_vccnz .LBB4_13
; %bb.12:
	s_trap 2
	ds_read_b64 v[8:9], v0
	v_mov_b32_e32 v3, 0
	v_lshlrev_b64 v[2:3], 3, v[2:3]
	v_and_b32_e32 v6, 0xffff, v6
	s_movk_i32 s4, 0xa8
	s_waitcnt lgkmcnt(0)
	v_add_co_u32_e32 v2, vcc, v8, v2
	v_addc_co_u32_e32 v3, vcc, v9, v3, vcc
	flat_load_dwordx2 v[2:3], v[2:3]
	v_cmp_eq_u32_e32 vcc, 0, v5
	s_waitcnt vmcnt(0) lgkmcnt(0)
	v_mad_u64_u32 v[2:3], s[4:5], v6, s4, v[2:3]
	flat_load_dwordx2 a[20:21], v[2:3]
	flat_load_dwordx2 v[28:29], v[2:3] offset:104
	v_cndmask_b32_e32 v23, 0, v3, vcc
	v_cndmask_b32_e32 v22, 0, v2, vcc
	s_branch .LBB4_14
.LBB4_13:
                                        ; implicit-def: $vgpr28_vgpr29
                                        ; implicit-def: $agpr20_agpr21
.LBB4_14:
	v_subrev_u32_e32 v2, 64, v20
	v_accvgpr_read_b32 v0, a2
	v_pk_mov_b32 v[12:13], 0, 0
	v_cmp_le_i32_e32 vcc, v2, v0
	v_cmp_gt_i32_e64 s[4:5], s6, v5
	v_accvgpr_write_b32 a23, v13
	s_and_b64 s[22:23], vcc, s[4:5]
	v_accvgpr_write_b32 a22, v12
	v_accvgpr_read_b32 v1, a3
                                        ; implicit-def: $vgpr38_vgpr39
	s_and_saveexec_b64 s[4:5], s[22:23]
	s_cbranch_execz .LBB4_16
; %bb.15:
	flat_load_dwordx2 a[22:23], v[24:25] offset:56
	flat_load_dwordx2 v[38:39], v[24:25] offset:104
.LBB4_16:
	s_or_b64 exec, exec, s[4:5]
	v_accvgpr_read_b32 v0, a2
	v_cmp_gt_i32_e64 s[4:5], s6, v0
	v_pk_mov_b32 v[32:33], v[12:13], v[12:13] op_sel:[0,1]
	v_accvgpr_read_b32 v1, a3
                                        ; implicit-def: $vgpr52_vgpr53
	s_and_saveexec_b64 s[6:7], s[4:5]
	s_cbranch_execz .LBB4_18
; %bb.17:
	flat_load_dwordx2 v[32:33], v[22:23] offset:56
	s_waitcnt vmcnt(0) lgkmcnt(0)
	flat_load_dwordx2 v[52:53], v[32:33] glc
	s_waitcnt vmcnt(0)
	flat_load_dwordx4 v[12:15], v[22:23] offset:96
.LBB4_18:
	s_or_b64 exec, exec, s[6:7]
	v_cmp_ne_u64_e32 vcc, 0, v[50:51]
	v_pk_mov_b32 v[42:43], 0, 0
	s_and_saveexec_b64 s[24:25], vcc
	s_cbranch_execz .LBB4_660
; %bb.19:
	v_add_co_u32_e32 v0, vcc, v10, v48
	v_mov_b32_e32 v41, 0
	s_ashr_i32 s6, s8, 31
	v_addc_co_u32_e32 v1, vcc, v11, v49, vcc
	v_and_b32_e32 v2, 0x1fffff0, v26
	v_mov_b32_e32 v3, v41
	s_lshr_b32 s6, s6, 29
	v_add_co_u32_e32 v0, vcc, v0, v18
	s_ashr_i32 s21, s20, 31
	s_add_i32 s8, s8, s6
	v_pk_mov_b32 v[36:37], v[2:3], v[2:3] op_sel:[0,1]
	v_accvgpr_write_b32 a26, v0
	v_addc_co_u32_e32 v0, vcc, v1, v4, vcc
	s_lshl_b64 s[6:7], s[20:21], 2
	v_accvgpr_read_b32 v2, a6
	v_accvgpr_write_b32 a27, v0
	v_mov_b32_e32 v0, s7
	v_accvgpr_read_b32 v3, a7
	v_add_co_u32_e32 v1, vcc, s6, v2
	v_addc_co_u32_e32 v0, vcc, v3, v0, vcc
	v_add_co_u32_e32 v2, vcc, -4, v1
	v_addc_co_u32_e32 v3, vcc, -1, v0, vcc
	v_and_b32_e32 v0, 63, v31
	v_ashrrev_i32_e32 v21, 31, v20
	v_cmp_eq_u32_e64 s[12:13], 0, v0
	v_lshrrev_b32_e32 v0, 26, v21
	v_accvgpr_write_b32 a29, v3
	v_add_u32_e32 v0, v20, v0
	v_accvgpr_write_b32 a28, v2
	v_ashrrev_i32_e32 v8, 6, v0
	v_accvgpr_read_b32 v0, a2
	v_accvgpr_read_b32 v2, a10
	v_lshlrev_b32_e32 v6, 3, v0
	v_accvgpr_read_b32 v4, a12
	v_ashrrev_i32_e32 v7, 31, v6
	v_accvgpr_read_b32 v5, a13
	v_add_co_u32_e32 v9, vcc, v4, v6
	v_addc_co_u32_e32 v10, vcc, v5, v7, vcc
	v_accvgpr_read_b32 v3, a11
	v_add_co_u32_e32 v2, vcc, v2, v6
	v_accvgpr_write_b32 a34, v2
	v_addc_co_u32_e32 v2, vcc, v3, v7, vcc
	v_accvgpr_write_b32 a35, v2
	v_accvgpr_read_b32 v2, a8
	v_accvgpr_read_b32 v1, a3
	v_accvgpr_read_b32 v3, a9
	v_add_co_u32_e32 v48, vcc, v9, v2
	s_ashr_i32 s10, s8, 3
	v_addc_co_u32_e32 v49, vcc, v10, v3, vcc
	v_lshlrev_b64 v[0:1], 4, v[0:1]
	s_waitcnt vmcnt(0) lgkmcnt(0)
	v_accvgpr_read_b32 v2, a20
	s_ashr_i32 s60, s8, 7
	s_and_b32 s21, s10, -16
	v_accvgpr_read_b32 v4, a22
	v_accvgpr_read_b32 v3, a21
	v_add_co_u32_e32 v0, vcc, v2, v0
	v_accvgpr_write_b32 a16, v24
	v_accvgpr_write_b32 a14, v22
	s_cmp_gt_i32 s20, 2
	v_accvgpr_read_b32 v5, a23
	v_accvgpr_write_b32 a31, v9
	v_accvgpr_write_b32 a39, v0
	v_addc_co_u32_e32 v0, vcc, v3, v1, vcc
	s_mov_b32 s36, -1
	v_accvgpr_write_b32 a30, v8
	v_ashrrev_i32_e32 v1, 31, v8
	v_lshlrev_b32_e32 v56, 3, v20
	v_pk_mov_b32 v[8:9], 0, 0
	v_accvgpr_write_b32 a4, v50
	v_accvgpr_write_b32 a10, v32
	v_accvgpr_write_b32 a24, v36
	v_accvgpr_write_b32 a17, v25
	v_accvgpr_write_b32 a15, v23
	s_mov_b64 s[26:27], 0
	v_cmp_ne_u64_e64 s[6:7], 0, v[32:33]
	v_cmp_ne_u64_e64 s[8:9], 0, v[12:13]
	v_cmp_ne_u32_e64 s[10:11], 64, v20
	v_accvgpr_write_b32 a1, v16
	v_cmp_ne_u32_sdwa s[28:29], v16, v20 src0_sel:WORD_0 src1_sel:DWORD
	v_accvgpr_write_b32 a0, v31
	s_cselect_b64 s[30:31], -1, 0
	v_cmp_ne_u64_e64 s[14:15], 0, v[4:5]
	v_accvgpr_write_b32 a32, v6
	v_accvgpr_write_b32 a3, v7
	;; [unrolled: 1-line block ×3, first 2 shown]
	v_lshlrev_b32_e32 v45, 6, v20
	v_accvgpr_write_b32 a40, v0
	s_movk_i32 s61, 0x2710
	s_mov_b64 s[34:35], 0x7ffffff8
	s_movk_i32 s62, 0xff
	s_movk_i32 s63, 0xff80
	s_movk_i32 s64, 0x7c
	s_brev_b32 s65, 1
	s_mov_b32 s37, 0xffffff
	s_movk_i32 s66, 0x80
	s_mov_b64 s[38:39], 0x7f800000
	s_mov_b64 s[40:41], 0x47600001
	s_movk_i32 s67, 0x72
	s_mov_b64 s[42:43], 0xffffff
	s_movk_i32 s68, 0x7f
	s_mov_b32 s69, 0x7c0000
	s_brev_b32 s70, 62
	s_mov_b32 s71, 0xc0c0500
	s_mov_b32 s72, 0x6050400
	;; [unrolled: 1-line block ×4, first 2 shown]
	v_bfrev_b32_e32 v25, 28
	v_mov_b32_e32 v30, -1
	v_mov_b32_e32 v47, 0xc7600000
	v_mov_b32_e32 v6, 0x47600000
	;; [unrolled: 1-line block ×6, first 2 shown]
	v_accvgpr_write_b32 a41, v1
	v_ashrrev_i32_e32 v57, 31, v56
	v_lshlrev_b64 v[58:59], 4, v[20:21]
	v_pk_mov_b32 v[42:43], v[8:9], v[8:9] op_sel:[0,1]
	v_accvgpr_write_b32 a5, v51
	v_accvgpr_write_b32 a11, v33
	;; [unrolled: 1-line block ×3, first 2 shown]
	v_pk_mov_b32 v[16:17], v[28:29], v[28:29] op_sel:[0,1]
	s_branch .LBB4_21
.LBB4_20:                               ;   in Loop: Header=BB4_21 Depth=1
	s_or_b64 exec, exec, s[16:17]
	v_add_co_u32_e32 v34, vcc, 1, v34
	v_addc_co_u32_e32 v35, vcc, 0, v35, vcc
	v_add_co_u32_e32 v8, vcc, v8, v36
	v_addc_co_u32_e32 v9, vcc, 0, v9, vcc
	v_cmp_ge_u64_e32 vcc, v[8:9], v[50:51]
	s_or_b64 s[26:27], vcc, s[26:27]
	v_add_co_u32_e32 v48, vcc, v48, v36
	v_addc_co_u32_e32 v49, vcc, 0, v49, vcc
	s_andn2_b64 exec, exec, s[26:27]
	s_cbranch_execz .LBB4_659
.LBB4_21:                               ; =>This Loop Header: Depth=1
                                        ;     Child Loop BB4_28 Depth 2
                                        ;     Child Loop BB4_45 Depth 2
	;; [unrolled: 1-line block ×5, first 2 shown]
                                        ;       Child Loop BB4_85 Depth 3
                                        ;       Child Loop BB4_101 Depth 3
	;; [unrolled: 1-line block ×3, first 2 shown]
                                        ;         Child Loop BB4_122 Depth 4
                                        ;       Child Loop BB4_362 Depth 3
                                        ;       Child Loop BB4_78 Depth 3
                                        ;     Child Loop BB4_381 Depth 2
                                        ;       Child Loop BB4_389 Depth 3
                                        ;     Child Loop BB4_647 Depth 2
	v_accvgpr_read_b32 v0, a28
	v_accvgpr_read_b32 v1, a29
	s_waitcnt vmcnt(0) lgkmcnt(0)
	flat_load_dword v2, v[0:1]
	v_sub_co_u32_e32 v0, vcc, v50, v8
	v_subb_co_u32_e32 v1, vcc, v51, v9, vcc
	v_cmp_lt_u64_e32 vcc, v[36:37], v[0:1]
	v_cndmask_b32_e32 v3, v0, v36, vcc
	v_lshl_add_u32 v0, v3, 1, 14
	v_and_b32_e32 v0, 0x7fffff0, v0
	v_accvgpr_write_b32 a44, v0
	s_mov_b64 s[16:17], exec
	v_accvgpr_write_b32 a43, v9
	s_and_b64 s[18:19], s[16:17], s[6:7]
	v_accvgpr_write_b32 a42, v8
	s_mov_b64 exec, s[18:19]
	s_cbranch_execz .LBB4_37
; %bb.22:                               ;   in Loop: Header=BB4_21 Depth=1
	v_add_co_u32_e32 v0, vcc, 1, v14
	v_addc_co_u32_e32 v1, vcc, 0, v15, vcc
	v_add_co_u32_e32 v4, vcc, 8, v52
	v_addc_co_u32_e32 v5, vcc, 0, v53, vcc
	v_cmp_lt_u64_e32 vcc, v[4:5], v[0:1]
	s_and_saveexec_b64 s[18:19], vcc
	s_cbranch_execz .LBB4_34
; %bb.23:                               ;   in Loop: Header=BB4_21 Depth=1
	s_sleep 1
	flat_load_dwordx2 v[52:53], v[32:33] glc
	v_cmp_eq_u32_e32 vcc, 0, v24
	s_and_saveexec_b64 s[44:45], vcc
	s_cbranch_execz .LBB4_33
; %bb.24:                               ;   in Loop: Header=BB4_21 Depth=1
	v_cndmask_b32_e64 v4, 0, 1, vcc
	s_mov_b64 s[46:47], 0
                                        ; implicit-def: $sgpr48_sgpr49
	s_branch .LBB4_28
.LBB4_25:                               ;   in Loop: Header=BB4_28 Depth=2
	s_or_b64 exec, exec, s[56:57]
	s_orn2_b64 s[54:55], s[54:55], exec
.LBB4_26:                               ;   in Loop: Header=BB4_28 Depth=2
	s_or_b64 exec, exec, s[52:53]
	s_xor_b64 vcc, s[54:55], -1
	s_andn2_b64 s[48:49], s[48:49], exec
	s_and_b64 vcc, vcc, exec
	s_or_b64 s[48:49], s[48:49], vcc
.LBB4_27:                               ;   in Loop: Header=BB4_28 Depth=2
	s_or_b64 exec, exec, s[50:51]
	s_and_b64 vcc, exec, s[48:49]
	s_or_b64 s[46:47], vcc, s[46:47]
	s_andn2_b64 exec, exec, s[46:47]
	s_cbranch_execz .LBB4_32
.LBB4_28:                               ;   Parent Loop BB4_21 Depth=1
                                        ; =>  This Inner Loop Header: Depth=2
	s_waitcnt vmcnt(0) lgkmcnt(0)
	v_add_co_u32_e32 v8, vcc, 8, v52
	v_addc_co_u32_e32 v9, vcc, 0, v53, vcc
	v_cmp_lt_u64_e32 vcc, v[8:9], v[0:1]
	v_mov_b32_e32 v24, 0
	s_or_b64 s[48:49], s[48:49], exec
	s_and_saveexec_b64 s[50:51], vcc
	s_cbranch_execz .LBB4_27
; %bb.29:                               ;   in Loop: Header=BB4_28 Depth=2
	s_sleep 1
	flat_load_dwordx2 v[52:53], v[32:33] glc
	v_add_u32_e32 v4, 1, v4
	v_cmp_eq_u32_e32 vcc, s61, v4
	s_mov_b64 s[54:55], -1
	v_mov_b32_e32 v24, 0
	s_and_saveexec_b64 s[52:53], vcc
	s_cbranch_execz .LBB4_26
; %bb.30:                               ;   in Loop: Header=BB4_28 Depth=2
	s_trap 2
	ds_read_b64 v[4:5], v0
	v_mov_b32_e32 v24, 0
	s_waitcnt vmcnt(0) lgkmcnt(0)
	flat_load_dword v5, v[4:5] glc
	s_waitcnt vmcnt(0) lgkmcnt(0)
	buffer_invl2
	buffer_wbinvl1_vol
	v_mov_b32_e32 v4, 0
	v_cmp_ne_u32_e32 vcc, 0, v5
	s_and_saveexec_b64 s[56:57], vcc
	s_cbranch_execz .LBB4_25
; %bb.31:                               ;   in Loop: Header=BB4_28 Depth=2
	v_mov_b32_e32 v24, 1
	s_xor_b64 s[54:55], exec, -1
	ds_write_b32 v0, v5
	s_trap 2
	s_branch .LBB4_25
.LBB4_32:                               ;   in Loop: Header=BB4_21 Depth=1
	s_or_b64 exec, exec, s[46:47]
	v_accvgpr_read_b32 v8, a42
	v_accvgpr_read_b32 v9, a43
.LBB4_33:                               ;   in Loop: Header=BB4_21 Depth=1
	s_or_b64 exec, exec, s[44:45]
.LBB4_34:                               ;   in Loop: Header=BB4_21 Depth=1
	s_or_b64 exec, exec, s[18:19]
	s_and_saveexec_b64 s[18:19], s[8:9]
	s_cbranch_execz .LBB4_36
; %bb.35:                               ;   in Loop: Header=BB4_21 Depth=1
	v_and_b32_e32 v40, 0x7ffffff8, v14
	v_mov_b32_e32 v4, s21
	v_cmp_eq_u64_e32 vcc, s[34:35], v[40:41]
	v_accvgpr_read_b32 v5, a44
	v_cndmask_b32_e32 v4, v5, v4, vcc
	v_and_b32_e32 v8, 7, v14
	v_ashrrev_i32_e32 v5, 31, v4
	v_mad_u64_u32 v[8:9], vcc, v8, 24, v[12:13]
	flat_store_dwordx2 v[8:9], v[4:5] offset:8
	s_waitcnt vmcnt(0)
	v_accvgpr_read_b32 v8, a42
	v_accvgpr_read_b32 v9, a43
.LBB4_36:                               ;   in Loop: Header=BB4_21 Depth=1
	s_or_b64 exec, exec, s[18:19]
	v_pk_mov_b32 v[14:15], v[0:1], v[0:1] op_sel:[0,1]
.LBB4_37:                               ;   in Loop: Header=BB4_21 Depth=1
	s_or_b64 exec, exec, s[16:17]
	s_and_saveexec_b64 s[16:17], s[10:11]
	s_cbranch_execz .LBB4_56
; %bb.38:                               ;   in Loop: Header=BB4_21 Depth=1
	s_and_saveexec_b64 s[18:19], s[28:29]
	s_xor_b64 s[18:19], exec, s[18:19]
	s_cbranch_execz .LBB4_53
; %bb.39:                               ;   in Loop: Header=BB4_21 Depth=1
	s_and_saveexec_b64 s[44:45], s[12:13]
	s_cbranch_execz .LBB4_52
; %bb.40:                               ;   in Loop: Header=BB4_21 Depth=1
	s_mov_b64 s[48:49], exec
	v_mbcnt_lo_u32_b32 v0, s48, 0
	v_mbcnt_hi_u32_b32 v0, s49, v0
	v_cmp_eq_u32_e32 vcc, 0, v0
	s_waitcnt vmcnt(0) lgkmcnt(0)
	buffer_wbinvl1_vol
	s_and_saveexec_b64 s[46:47], vcc
	s_cbranch_execz .LBB4_42
; %bb.41:                               ;   in Loop: Header=BB4_21 Depth=1
	s_bcnt1_i32_b64 vcc_lo, s[48:49]
	v_mov_b32_e32 v40, vcc_lo
	ds_add_u64 v0, v[40:41]
	s_trap 2
.LBB4_42:                               ;   in Loop: Header=BB4_21 Depth=1
	s_or_b64 exec, exec, s[46:47]
	s_trap 2
	ds_read_b64 v[0:1], v0
	v_accvgpr_read_b32 v4, a30
	v_add_co_u32_e32 v42, vcc, v42, v4
	v_accvgpr_read_b32 v5, a41
	v_addc_co_u32_e32 v43, vcc, v43, v5, vcc
	s_waitcnt lgkmcnt(0)
	v_cmp_lt_u64_e32 vcc, v[0:1], v[42:43]
	s_and_saveexec_b64 s[46:47], vcc
	s_cbranch_execz .LBB4_51
; %bb.43:                               ;   in Loop: Header=BB4_21 Depth=1
	s_mov_b32 s58, 0
	s_mov_b64 s[48:49], 0
                                        ; implicit-def: $sgpr50_sgpr51
                                        ; implicit-def: $sgpr52_sgpr53
	s_branch .LBB4_45
.LBB4_44:                               ;   in Loop: Header=BB4_45 Depth=2
	s_or_b64 exec, exec, s[56:57]
	s_and_b64 vcc, exec, vcc
	s_or_b64 s[48:49], vcc, s[48:49]
	s_andn2_b64 vcc, s[50:51], exec
	s_and_b64 s[50:51], s[52:53], exec
	s_or_b64 s[50:51], vcc, s[50:51]
	s_andn2_b64 exec, exec, s[48:49]
	s_cbranch_execz .LBB4_49
.LBB4_45:                               ;   Parent Loop BB4_21 Depth=1
                                        ; =>  This Inner Loop Header: Depth=2
	s_add_i32 s58, s58, 1
	s_cmpk_lg_i32 s58, 0x2710
	s_cselect_b64 s[54:55], -1, 0
	s_and_b64 vcc, exec, s[54:55]
                                        ; implicit-def: $sgpr56_sgpr57
	s_cbranch_vccnz .LBB4_47
; %bb.46:                               ;   in Loop: Header=BB4_45 Depth=2
	s_trap 2
	ds_read_b64 v[0:1], v0
	s_andn2_b64 s[54:55], s[54:55], exec
	s_mov_b32 s58, 0
	s_mov_b64 s[56:57], -1
	s_waitcnt lgkmcnt(0)
	flat_load_dword v0, v[0:1] glc
	s_waitcnt vmcnt(0) lgkmcnt(0)
	buffer_invl2
	buffer_wbinvl1_vol
	v_cmp_eq_u32_e32 vcc, 0, v0
	s_and_b64 vcc, vcc, exec
	s_or_b64 s[54:55], s[54:55], vcc
.LBB4_47:                               ;   in Loop: Header=BB4_45 Depth=2
	s_andn2_b64 s[52:53], s[52:53], exec
	s_and_b64 s[56:57], s[56:57], exec
	s_mov_b64 vcc, -1
	s_or_b64 s[52:53], s[52:53], s[56:57]
	s_and_saveexec_b64 s[56:57], s[54:55]
	s_cbranch_execz .LBB4_44
; %bb.48:                               ;   in Loop: Header=BB4_45 Depth=2
	s_sleep 1
	s_trap 2
	ds_read_b64 v[0:1], v0
	s_andn2_b64 s[52:53], s[52:53], exec
	s_waitcnt lgkmcnt(0)
	v_cmp_ge_u64_e32 vcc, v[0:1], v[42:43]
	s_orn2_b64 vcc, vcc, exec
	s_branch .LBB4_44
.LBB4_49:                               ;   in Loop: Header=BB4_21 Depth=1
	s_or_b64 exec, exec, s[48:49]
	s_and_saveexec_b64 vcc, s[50:51]
	s_xor_b64 vcc, exec, vcc
	s_cbranch_execz .LBB4_51
; %bb.50:                               ;   in Loop: Header=BB4_21 Depth=1
	v_mov_b32_e32 v0, 1
	ds_write_b32 v0, v0
	s_trap 2
.LBB4_51:                               ;   in Loop: Header=BB4_21 Depth=1
	s_or_b64 exec, exec, s[46:47]
	;;#ASMSTART
	s_wakeup
	;;#ASMEND
.LBB4_52:                               ;   in Loop: Header=BB4_21 Depth=1
	s_or_b64 exec, exec, s[44:45]
.LBB4_53:                               ;   in Loop: Header=BB4_21 Depth=1
	s_andn2_saveexec_b64 s[18:19], s[18:19]
	s_cbranch_execz .LBB4_55
; %bb.54:                               ;   in Loop: Header=BB4_21 Depth=1
	s_waitcnt vmcnt(0) lgkmcnt(0)
	buffer_wbinvl1_vol
	s_barrier
.LBB4_55:                               ;   in Loop: Header=BB4_21 Depth=1
	s_or_b64 exec, exec, s[18:19]
.LBB4_56:                               ;   in Loop: Header=BB4_21 Depth=1
	s_or_b64 exec, exec, s[16:17]
	v_accvgpr_read_b32 v0, a32
	v_sub_u32_e32 v60, v3, v0
	v_cmp_lt_i32_e64 s[16:17], 0, v60
	v_and_b32_e32 v1, 7, v16
	v_accvgpr_read_b32 v0, a2
	s_and_saveexec_b64 s[18:19], s[16:17]
	s_cbranch_execz .LBB4_64
; %bb.57:                               ;   in Loop: Header=BB4_21 Depth=1
	s_waitcnt vmcnt(0) lgkmcnt(0)
	v_ashrrev_i32_e32 v0, 31, v2
	v_pk_mov_b32 v[28:29], v[16:17], v[16:17] op_sel:[0,1]
	v_mov_b32_e32 v3, v16
	v_add_co_u32_e64 v8, vcc, 0, 0
	v_accvgpr_read_b32 v16, a26
	v_accvgpr_read_b32 v9, a27
	v_mul_lo_u32 v4, v1, s60
	v_addc_co_u32_e32 v3, vcc, 1, v3, vcc
	v_mad_u64_u32 v[10:11], vcc, v16, v2, v[48:49]
	v_mul_lo_u32 v9, v9, v2
	v_mul_lo_u32 v0, v16, v0
	v_ashrrev_i32_e32 v5, 31, v4
	v_add3_u32 v11, v9, v11, v0
	v_mul_lo_u32 v0, v16, v2
	v_add_lshl_u32 v9, v48, v0, 3
	v_lshlrev_b64 v[4:5], 4, v[4:5]
	v_accvgpr_read_b32 v0, a39
	v_add_co_u32_e32 v18, vcc, v0, v4
	v_accvgpr_read_b32 v0, a40
	v_addc_co_u32_e32 v19, vcc, v0, v5, vcc
	s_mov_b64 s[44:45], 0
	v_mov_b32_e32 v21, v60
	v_accvgpr_read_b32 v0, a2
	s_branch .LBB4_59
.LBB4_58:                               ;   in Loop: Header=BB4_59 Depth=2
	s_or_b64 exec, exec, s[46:47]
	v_add_co_u32_e32 v10, vcc, v10, v56
	s_waitcnt vmcnt(0)
	v_alignbit_b32 v2, v23, v2, v9
	v_alignbit_b32 v4, v22, v23, v9
	v_sub_u32_e32 v21, v21, v56
	v_addc_co_u32_e32 v11, vcc, v11, v57, vcc
	v_or_b32_e32 v2, v8, v2
	v_or_b32_e32 v4, v8, v4
	v_mov_b32_e32 v5, v3
	v_cmp_gt_i32_e32 vcc, 1, v21
	global_store_dwordx4 v[18:19], v[2:5], off
	s_or_b64 s[44:45], vcc, s[44:45]
	v_add_co_u32_e32 v18, vcc, v18, v58
	v_add_u32_e32 v0, v0, v20
	v_add_u32_e32 v9, v9, v45
	v_addc_co_u32_e32 v19, vcc, v19, v59, vcc
	s_andn2_b64 exec, exec, s[44:45]
	s_cbranch_execz .LBB4_63
.LBB4_59:                               ;   Parent Loop BB4_21 Depth=1
                                        ; =>  This Inner Loop Header: Depth=2
	v_and_b32_e32 v4, -4, v10
	v_mov_b32_e32 v5, v11
	global_load_dword v2, v[4:5], off glc slc
	v_min_u32_e32 v16, 8, v21
	v_and_b32_e32 v17, 3, v10
	v_add_co_u32_e32 v26, vcc, v17, v16
	v_addc_co_u32_e64 v27, vcc, 0, 0, vcc
	v_mov_b32_e32 v22, 0
	v_cmp_lt_u64_e32 vcc, 4, v[26:27]
	v_mov_b32_e32 v23, 0
	s_and_saveexec_b64 s[46:47], vcc
	s_cbranch_execz .LBB4_61
; %bb.60:                               ;   in Loop: Header=BB4_59 Depth=2
	global_load_dword v23, v[4:5], off offset:4 glc slc
.LBB4_61:                               ;   in Loop: Header=BB4_59 Depth=2
	s_or_b64 exec, exec, s[46:47]
	v_cmp_lt_u64_e32 vcc, 8, v[26:27]
	s_and_saveexec_b64 s[46:47], vcc
	s_cbranch_execz .LBB4_58
; %bb.62:                               ;   in Loop: Header=BB4_59 Depth=2
	global_load_dword v22, v[4:5], off offset:8 glc slc
	s_branch .LBB4_58
.LBB4_63:                               ;   in Loop: Header=BB4_21 Depth=1
	s_or_b64 exec, exec, s[44:45]
	v_accvgpr_read_b32 v8, a42
	v_accvgpr_read_b32 v9, a43
	v_pk_mov_b32 v[16:17], v[28:29], v[28:29] op_sel:[0,1]
.LBB4_64:                               ;   in Loop: Header=BB4_21 Depth=1
	s_or_b64 exec, exec, s[18:19]
	v_and_b32_e32 v40, 0x7ffffff8, v16
	v_cmp_eq_u64_e32 vcc, s[34:35], v[40:41]
	v_cmp_gt_i32_e64 s[18:19], s60, v0
	s_and_b64 s[18:19], vcc, s[18:19]
	s_and_saveexec_b64 s[44:45], s[18:19]
	s_cbranch_execz .LBB4_67
; %bb.65:                               ;   in Loop: Header=BB4_21 Depth=1
	v_mul_lo_u32 v4, v1, s60
	v_mov_b32_e32 v1, v16
	s_waitcnt vmcnt(0) lgkmcnt(0)
	v_add_co_u32_e64 v2, vcc, 0, 0
	v_ashrrev_i32_e32 v5, 31, v4
	v_addc_co_u32_e32 v3, vcc, 1, v1, vcc
	v_ashrrev_i32_e32 v1, 31, v0
	v_lshlrev_b64 v[8:9], 4, v[0:1]
	v_lshlrev_b64 v[4:5], 4, v[4:5]
	v_add_co_u32_e32 v1, vcc, v8, v4
	v_addc_co_u32_e32 v4, vcc, v9, v5, vcc
	v_accvgpr_read_b32 v8, a20
	v_accvgpr_read_b32 v9, a21
	v_add_co_u32_e32 v10, vcc, v8, v1
	v_addc_co_u32_e32 v11, vcc, v9, v4, vcc
	v_accvgpr_read_b32 v8, a42
	v_accvgpr_read_b32 v9, a43
	s_mov_b64 s[46:47], 0
.LBB4_66:                               ;   Parent Loop BB4_21 Depth=1
                                        ; =>  This Inner Loop Header: Depth=2
	v_mov_b32_e32 v4, v2
	v_mov_b32_e32 v5, v3
	v_add_u32_e32 v0, v0, v20
	global_store_dwordx4 v[10:11], v[2:5], off
	v_cmp_le_i32_e32 vcc, s60, v0
	v_add_co_u32_e64 v10, s[18:19], v10, v58
	s_or_b64 s[46:47], vcc, s[46:47]
	v_addc_co_u32_e64 v11, vcc, v11, v59, s[18:19]
	s_andn2_b64 exec, exec, s[46:47]
	s_cbranch_execnz .LBB4_66
.LBB4_67:                               ;   in Loop: Header=BB4_21 Depth=1
	s_or_b64 exec, exec, s[44:45]
	v_accvgpr_read_b32 v0, a8
	v_accvgpr_read_b32 v1, a9
	s_waitcnt vmcnt(0) lgkmcnt(0)
	v_add_co_u32_e32 v2, vcc, v8, v0
	v_addc_co_u32_e32 v1, vcc, v9, v1, vcc
	v_add_co_u32_e64 v28, s[18:19], 1, v16
	s_andn2_b64 vcc, exec, s[30:31]
	v_addc_co_u32_e64 v29, s[18:19], 0, v17, s[18:19]
	s_cbranch_vccnz .LBB4_373
; %bb.68:                               ;   in Loop: Header=BB4_21 Depth=1
	v_accvgpr_read_b32 v0, a31
	v_accvgpr_write_b32 a45, v2
	v_add_co_u32_e32 v2, vcc, v0, v2
	v_accvgpr_read_b32 v0, a33
	v_addc_co_u32_e32 v3, vcc, v0, v1, vcc
	v_accvgpr_write_b32 a36, v48
	v_accvgpr_write_b32 a49, v3
	;; [unrolled: 1-line block ×5, first 2 shown]
	v_add_u16_e32 v48, 1, v16
	s_mov_b32 s75, 2
	s_branch .LBB4_70
.LBB4_69:                               ;   in Loop: Header=BB4_70 Depth=2
	s_or_b64 exec, exec, s[44:45]
	v_add_co_u32_e32 v34, vcc, 1, v34
	v_addc_co_u32_e32 v35, vcc, 0, v35, vcc
	s_add_i32 s75, s75, 1
	v_add_co_u32_e32 v28, vcc, 1, v28
	v_addc_co_u32_e32 v29, vcc, 0, v29, vcc
	s_cmp_eq_u32 s75, s20
	v_add_u16_e32 v48, 1, v48
	s_cbranch_scc1 .LBB4_374
.LBB4_70:                               ;   Parent Loop BB4_21 Depth=1
                                        ; =>  This Loop Header: Depth=2
                                        ;       Child Loop BB4_85 Depth 3
                                        ;       Child Loop BB4_101 Depth 3
	;; [unrolled: 1-line block ×3, first 2 shown]
                                        ;         Child Loop BB4_122 Depth 4
                                        ;       Child Loop BB4_362 Depth 3
                                        ;       Child Loop BB4_78 Depth 3
	s_sub_i32 s18, s20, s75
	s_ashr_i32 s19, s18, 31
	s_lshl_b64 s[18:19], s[18:19], 2
	s_waitcnt vmcnt(0) lgkmcnt(0)
	v_accvgpr_read_b32 v2, a6
	v_mov_b32_e32 v1, s19
	v_accvgpr_read_b32 v3, a7
	v_add_co_u32_e32 v0, vcc, s18, v2
	v_addc_co_u32_e32 v1, vcc, v3, v1, vcc
	flat_load_dword v2, v[0:1]
	s_and_saveexec_b64 s[18:19], s[6:7]
	s_cbranch_execnz .LBB4_79
; %bb.71:                               ;   in Loop: Header=BB4_70 Depth=2
	s_or_b64 exec, exec, s[18:19]
	s_and_saveexec_b64 s[18:19], s[10:11]
	s_cbranch_execnz .LBB4_94
.LBB4_72:                               ;   in Loop: Header=BB4_70 Depth=2
	s_or_b64 exec, exec, s[18:19]
	v_accvgpr_read_b32 v0, a2
	s_and_saveexec_b64 s[44:45], s[16:17]
	s_cbranch_execnz .LBB4_112
.LBB4_73:                               ;   in Loop: Header=BB4_70 Depth=2
	s_or_b64 exec, exec, s[44:45]
	s_and_saveexec_b64 s[18:19], s[10:11]
	s_cbranch_execnz .LBB4_355
.LBB4_74:                               ;   in Loop: Header=BB4_70 Depth=2
	s_or_b64 exec, exec, s[18:19]
	s_and_saveexec_b64 s[18:19], s[14:15]
	s_cbranch_execz .LBB4_76
.LBB4_75:                               ;   in Loop: Header=BB4_70 Depth=2
	v_add_co_u32_e32 v38, vcc, 1, v38
	s_waitcnt vmcnt(0) lgkmcnt(0)
	v_accvgpr_read_b32 v2, a22
	v_addc_co_u32_e32 v39, vcc, 0, v39, vcc
	v_accvgpr_read_b32 v3, a23
	flat_store_dwordx2 v[2:3], v[38:39]
.LBB4_76:                               ;   in Loop: Header=BB4_70 Depth=2
	s_or_b64 exec, exec, s[18:19]
	v_and_b32_e32 v40, 0x7ffffff8, v28
	v_cmp_eq_u64_e32 vcc, s[34:35], v[40:41]
	v_cmp_gt_i32_e64 s[18:19], s60, v0
	s_and_b64 s[18:19], vcc, s[18:19]
	s_and_saveexec_b64 s[44:45], s[18:19]
	s_cbranch_execz .LBB4_69
; %bb.77:                               ;   in Loop: Header=BB4_70 Depth=2
	v_and_b32_e32 v1, 7, v48
	s_waitcnt vmcnt(0) lgkmcnt(0)
	v_mul_lo_u32 v2, s60, v1
	v_ashrrev_i32_e32 v3, 31, v2
	v_lshlrev_b64 v[4:5], 4, v[2:3]
	v_mov_b32_e32 v1, v28
	v_add_co_u32_e64 v2, vcc, 0, 0
	v_addc_co_u32_e32 v3, vcc, 1, v1, vcc
	v_ashrrev_i32_e32 v1, 31, v0
	v_lshlrev_b64 v[8:9], 4, v[0:1]
	v_add_co_u32_e32 v1, vcc, v8, v4
	v_addc_co_u32_e32 v4, vcc, v9, v5, vcc
	v_accvgpr_read_b32 v8, a20
	v_accvgpr_read_b32 v9, a21
	v_add_co_u32_e32 v10, vcc, v8, v1
	v_addc_co_u32_e32 v11, vcc, v9, v4, vcc
	v_accvgpr_read_b32 v8, a42
	v_accvgpr_read_b32 v9, a43
	s_mov_b64 s[46:47], 0
.LBB4_78:                               ;   Parent Loop BB4_21 Depth=1
                                        ;     Parent Loop BB4_70 Depth=2
                                        ; =>    This Inner Loop Header: Depth=3
	v_mov_b32_e32 v4, v2
	v_mov_b32_e32 v5, v3
	v_add_u32_e32 v0, v0, v20
	global_store_dwordx4 v[10:11], v[2:5], off
	v_cmp_le_i32_e32 vcc, s60, v0
	v_add_co_u32_e64 v10, s[18:19], v10, v58
	s_or_b64 s[46:47], vcc, s[46:47]
	v_addc_co_u32_e64 v11, vcc, v11, v59, s[18:19]
	s_andn2_b64 exec, exec, s[46:47]
	s_cbranch_execnz .LBB4_78
	s_branch .LBB4_69
.LBB4_79:                               ;   in Loop: Header=BB4_70 Depth=2
	v_add_co_u32_e32 v0, vcc, 1, v14
	v_addc_co_u32_e32 v1, vcc, 0, v15, vcc
	v_add_co_u32_e32 v4, vcc, 8, v52
	v_addc_co_u32_e32 v5, vcc, 0, v53, vcc
	v_cmp_lt_u64_e32 vcc, v[4:5], v[0:1]
	s_and_saveexec_b64 s[44:45], vcc
	s_cbranch_execz .LBB4_91
; %bb.80:                               ;   in Loop: Header=BB4_70 Depth=2
	s_sleep 1
	flat_load_dwordx2 v[52:53], v[32:33] glc
	v_cmp_eq_u32_e32 vcc, 0, v24
	s_and_saveexec_b64 s[46:47], vcc
	s_cbranch_execz .LBB4_90
; %bb.81:                               ;   in Loop: Header=BB4_70 Depth=2
	v_cndmask_b32_e64 v3, 0, 1, vcc
	s_mov_b64 s[48:49], 0
                                        ; implicit-def: $sgpr50_sgpr51
	s_branch .LBB4_85
.LBB4_82:                               ;   in Loop: Header=BB4_85 Depth=3
	s_or_b64 exec, exec, s[58:59]
	s_orn2_b64 s[56:57], s[56:57], exec
.LBB4_83:                               ;   in Loop: Header=BB4_85 Depth=3
	s_or_b64 exec, exec, s[54:55]
	s_xor_b64 vcc, s[56:57], -1
	s_andn2_b64 s[50:51], s[50:51], exec
	s_and_b64 vcc, vcc, exec
	s_or_b64 s[50:51], s[50:51], vcc
.LBB4_84:                               ;   in Loop: Header=BB4_85 Depth=3
	s_or_b64 exec, exec, s[52:53]
	s_and_b64 vcc, exec, s[50:51]
	s_or_b64 s[48:49], vcc, s[48:49]
	s_andn2_b64 exec, exec, s[48:49]
	s_cbranch_execz .LBB4_89
.LBB4_85:                               ;   Parent Loop BB4_21 Depth=1
                                        ;     Parent Loop BB4_70 Depth=2
                                        ; =>    This Inner Loop Header: Depth=3
	s_waitcnt vmcnt(0) lgkmcnt(0)
	v_add_co_u32_e32 v4, vcc, 8, v52
	v_addc_co_u32_e32 v5, vcc, 0, v53, vcc
	v_cmp_lt_u64_e32 vcc, v[4:5], v[0:1]
	v_mov_b32_e32 v24, 0
	s_or_b64 s[50:51], s[50:51], exec
	s_and_saveexec_b64 s[52:53], vcc
	s_cbranch_execz .LBB4_84
; %bb.86:                               ;   in Loop: Header=BB4_85 Depth=3
	s_sleep 1
	flat_load_dwordx2 v[52:53], v[32:33] glc
	v_add_u32_e32 v3, 1, v3
	v_cmp_eq_u32_e32 vcc, s61, v3
	s_mov_b64 s[56:57], -1
	v_mov_b32_e32 v24, 0
	s_and_saveexec_b64 s[54:55], vcc
	s_cbranch_execz .LBB4_83
; %bb.87:                               ;   in Loop: Header=BB4_85 Depth=3
	s_trap 2
	ds_read_b64 v[4:5], v0
	v_mov_b32_e32 v3, 0
	v_mov_b32_e32 v24, 0
	s_waitcnt vmcnt(0) lgkmcnt(0)
	flat_load_dword v4, v[4:5] glc
	s_waitcnt vmcnt(0) lgkmcnt(0)
	buffer_invl2
	buffer_wbinvl1_vol
	v_cmp_ne_u32_e32 vcc, 0, v4
	s_and_saveexec_b64 s[58:59], vcc
	s_cbranch_execz .LBB4_82
; %bb.88:                               ;   in Loop: Header=BB4_85 Depth=3
	v_mov_b32_e32 v24, 1
	s_xor_b64 s[56:57], exec, -1
	ds_write_b32 v0, v4
	s_trap 2
	s_branch .LBB4_82
.LBB4_89:                               ;   in Loop: Header=BB4_70 Depth=2
	s_or_b64 exec, exec, s[48:49]
.LBB4_90:                               ;   in Loop: Header=BB4_70 Depth=2
	s_or_b64 exec, exec, s[46:47]
.LBB4_91:                               ;   in Loop: Header=BB4_70 Depth=2
	s_or_b64 exec, exec, s[44:45]
	s_and_saveexec_b64 s[44:45], s[8:9]
	s_cbranch_execz .LBB4_93
; %bb.92:                               ;   in Loop: Header=BB4_70 Depth=2
	v_and_b32_e32 v40, 0x7ffffff8, v14
	v_mov_b32_e32 v3, s21
	v_cmp_eq_u64_e32 vcc, s[34:35], v[40:41]
	v_accvgpr_read_b32 v4, a44
	v_cndmask_b32_e32 v4, v4, v3, vcc
	v_and_b32_e32 v3, 7, v14
	v_ashrrev_i32_e32 v5, 31, v4
	v_mad_u64_u32 v[8:9], vcc, v3, 24, v[12:13]
	flat_store_dwordx2 v[8:9], v[4:5] offset:8
	s_waitcnt vmcnt(0)
	v_accvgpr_read_b32 v8, a42
	v_accvgpr_read_b32 v9, a43
.LBB4_93:                               ;   in Loop: Header=BB4_70 Depth=2
	s_or_b64 exec, exec, s[44:45]
	v_pk_mov_b32 v[14:15], v[0:1], v[0:1] op_sel:[0,1]
	s_or_b64 exec, exec, s[18:19]
	s_and_saveexec_b64 s[18:19], s[10:11]
	s_cbranch_execz .LBB4_72
.LBB4_94:                               ;   in Loop: Header=BB4_70 Depth=2
	s_and_saveexec_b64 vcc, s[28:29]
	s_xor_b64 s[44:45], exec, vcc
	s_cbranch_execz .LBB4_109
; %bb.95:                               ;   in Loop: Header=BB4_70 Depth=2
	s_and_saveexec_b64 s[46:47], s[12:13]
	s_cbranch_execz .LBB4_108
; %bb.96:                               ;   in Loop: Header=BB4_70 Depth=2
	s_mov_b64 s[50:51], exec
	v_mbcnt_lo_u32_b32 v0, s50, 0
	v_mbcnt_hi_u32_b32 v0, s51, v0
	v_cmp_eq_u32_e32 vcc, 0, v0
	s_waitcnt vmcnt(0) lgkmcnt(0)
	buffer_wbinvl1_vol
	s_and_saveexec_b64 s[48:49], vcc
	s_cbranch_execz .LBB4_98
; %bb.97:                               ;   in Loop: Header=BB4_70 Depth=2
	s_bcnt1_i32_b64 vcc_lo, s[50:51]
	v_mov_b32_e32 v40, vcc_lo
	ds_add_u64 v0, v[40:41]
	s_trap 2
.LBB4_98:                               ;   in Loop: Header=BB4_70 Depth=2
	s_or_b64 exec, exec, s[48:49]
	s_trap 2
	ds_read_b64 v[0:1], v0
	v_accvgpr_read_b32 v4, a30
	v_add_co_u32_e32 v42, vcc, v42, v4
	v_accvgpr_read_b32 v3, a41
	v_addc_co_u32_e32 v43, vcc, v43, v3, vcc
	s_waitcnt lgkmcnt(0)
	v_cmp_lt_u64_e32 vcc, v[0:1], v[42:43]
	s_and_saveexec_b64 s[48:49], vcc
	s_cbranch_execz .LBB4_107
; %bb.99:                               ;   in Loop: Header=BB4_70 Depth=2
	s_mov_b32 s76, 0
	s_mov_b64 s[50:51], 0
                                        ; implicit-def: $sgpr52_sgpr53
                                        ; implicit-def: $sgpr54_sgpr55
	s_branch .LBB4_101
.LBB4_100:                              ;   in Loop: Header=BB4_101 Depth=3
	s_or_b64 exec, exec, s[58:59]
	s_and_b64 vcc, exec, vcc
	s_or_b64 s[50:51], vcc, s[50:51]
	s_andn2_b64 vcc, s[52:53], exec
	s_and_b64 s[52:53], s[54:55], exec
	s_or_b64 s[52:53], vcc, s[52:53]
	s_andn2_b64 exec, exec, s[50:51]
	s_cbranch_execz .LBB4_105
.LBB4_101:                              ;   Parent Loop BB4_21 Depth=1
                                        ;     Parent Loop BB4_70 Depth=2
                                        ; =>    This Inner Loop Header: Depth=3
	s_add_i32 s76, s76, 1
	s_cmpk_lg_i32 s76, 0x2710
	s_cselect_b64 s[56:57], -1, 0
	s_and_b64 vcc, exec, s[56:57]
                                        ; implicit-def: $sgpr58_sgpr59
	s_cbranch_vccnz .LBB4_103
; %bb.102:                              ;   in Loop: Header=BB4_101 Depth=3
	s_trap 2
	ds_read_b64 v[0:1], v0
	s_andn2_b64 s[56:57], s[56:57], exec
	s_mov_b32 s76, 0
	s_mov_b64 s[58:59], -1
	s_waitcnt lgkmcnt(0)
	flat_load_dword v0, v[0:1] glc
	s_waitcnt vmcnt(0) lgkmcnt(0)
	buffer_invl2
	buffer_wbinvl1_vol
	v_cmp_eq_u32_e32 vcc, 0, v0
	s_and_b64 vcc, vcc, exec
	s_or_b64 s[56:57], s[56:57], vcc
.LBB4_103:                              ;   in Loop: Header=BB4_101 Depth=3
	s_andn2_b64 s[54:55], s[54:55], exec
	s_and_b64 s[58:59], s[58:59], exec
	s_mov_b64 vcc, -1
	s_or_b64 s[54:55], s[54:55], s[58:59]
	s_and_saveexec_b64 s[58:59], s[56:57]
	s_cbranch_execz .LBB4_100
; %bb.104:                              ;   in Loop: Header=BB4_101 Depth=3
	s_sleep 1
	s_trap 2
	ds_read_b64 v[0:1], v0
	s_andn2_b64 s[54:55], s[54:55], exec
	s_waitcnt lgkmcnt(0)
	v_cmp_ge_u64_e32 vcc, v[0:1], v[42:43]
	s_orn2_b64 vcc, vcc, exec
	s_branch .LBB4_100
.LBB4_105:                              ;   in Loop: Header=BB4_70 Depth=2
	s_or_b64 exec, exec, s[50:51]
	s_and_saveexec_b64 vcc, s[52:53]
	s_xor_b64 vcc, exec, vcc
	s_cbranch_execz .LBB4_107
; %bb.106:                              ;   in Loop: Header=BB4_70 Depth=2
	v_mov_b32_e32 v0, 1
	ds_write_b32 v0, v0
	s_trap 2
.LBB4_107:                              ;   in Loop: Header=BB4_70 Depth=2
	s_or_b64 exec, exec, s[48:49]
	;;#ASMSTART
	s_wakeup
	;;#ASMEND
.LBB4_108:                              ;   in Loop: Header=BB4_70 Depth=2
	s_or_b64 exec, exec, s[46:47]
.LBB4_109:                              ;   in Loop: Header=BB4_70 Depth=2
	s_andn2_saveexec_b64 vcc, s[44:45]
	s_cbranch_execz .LBB4_111
; %bb.110:                              ;   in Loop: Header=BB4_70 Depth=2
	s_waitcnt vmcnt(0) lgkmcnt(0)
	buffer_wbinvl1_vol
	s_barrier
.LBB4_111:                              ;   in Loop: Header=BB4_70 Depth=2
	s_or_b64 exec, exec, vcc
	s_or_b64 exec, exec, s[18:19]
	v_accvgpr_read_b32 v0, a2
	s_and_saveexec_b64 s[44:45], s[16:17]
	s_cbranch_execz .LBB4_73
.LBB4_112:                              ;   in Loop: Header=BB4_70 Depth=2
	v_accvgpr_read_b32 v4, a48
	s_waitcnt vmcnt(0) lgkmcnt(0)
	v_ashrrev_i32_e32 v0, 31, v2
	v_accvgpr_read_b32 v3, a26
	v_accvgpr_read_b32 v5, a49
	;; [unrolled: 1-line block ×3, first 2 shown]
	v_accvgpr_write_b32 a38, v45
	v_mad_u64_u32 v[44:45], s[18:19], v3, v2, v[4:5]
	v_mul_lo_u32 v1, v1, v2
	v_mul_lo_u32 v0, v3, v0
	v_add3_u32 v45, v1, v45, v0
	v_and_b32_e32 v0, 7, v34
	v_mul_lo_u32 v0, v0, s60
	v_ashrrev_i32_e32 v1, 31, v0
	v_lshlrev_b64 v[0:1], 4, v[0:1]
	v_accvgpr_read_b32 v2, a18
	v_add_co_u32_e32 v49, vcc, v2, v0
	v_and_b32_e32 v0, 7, v28
	v_accvgpr_read_b32 v3, a19
	v_mul_lo_u32 v0, v0, s60
	v_addc_co_u32_e32 v31, vcc, v3, v1, vcc
	v_ashrrev_i32_e32 v1, 31, v0
	v_lshlrev_b64 v[0:1], 4, v[0:1]
	v_accvgpr_read_b32 v2, a20
	v_accvgpr_read_b32 v3, a21
	v_add_co_u32_e32 v9, vcc, v2, v0
	v_addc_co_u32_e32 v32, vcc, v3, v1, vcc
	v_mov_b32_e32 v1, v28
	v_add_co_u32_e64 v33, vcc, 0, 0
	v_add_u32_e32 v8, 1, v34
	v_addc_co_u32_e32 v3, vcc, 1, v1, vcc
	s_mov_b64 s[46:47], 0
	v_mov_b32_e32 v21, v60
	v_accvgpr_read_b32 v0, a2
	s_branch .LBB4_114
.LBB4_113:                              ;   in Loop: Header=BB4_114 Depth=3
	s_or_b64 exec, exec, s[18:19]
	v_and_b32_e32 v2, 0xff, v61
	v_lshlrev_b32_e32 v11, 8, v17
	v_add_co_u32_e32 v44, vcc, v44, v56
	v_lshlrev_b32_e32 v2, 16, v2
	v_perm_b32 v1, v11, v1, s71
	v_lshlrev_b32_e32 v11, 8, v26
	v_addc_co_u32_e32 v45, vcc, v45, v57, vcc
	v_lshl_or_b32 v2, v16, 24, v2
	v_lshlrev_b32_e32 v16, 24, v10
	v_perm_b32 v10, v11, v19, s71
	v_lshl_or_b32 v17, v27, 16, v10
	v_add_co_u32_e32 v10, vcc, v9, v4
	v_addc_co_u32_e32 v11, vcc, v32, v5, vcc
	v_sub_u32_e32 v21, v21, v56
	v_cmp_gt_i32_e32 vcc, 1, v21
	v_or3_b32 v2, v2, v1, v33
	v_or3_b32 v4, v16, v17, v33
	v_mov_b32_e32 v5, v3
	s_or_b64 s[46:47], vcc, s[46:47]
	v_add_u32_e32 v0, v0, v20
	global_store_dwordx4 v[10:11], v[2:5], off
	s_andn2_b64 exec, exec, s[46:47]
	s_cbranch_execz .LBB4_354
.LBB4_114:                              ;   Parent Loop BB4_21 Depth=1
                                        ;     Parent Loop BB4_70 Depth=2
                                        ; =>    This Loop Header: Depth=3
                                        ;         Child Loop BB4_122 Depth 4
	v_and_b32_e32 v4, -4, v44
	v_mov_b32_e32 v5, v45
	global_load_dword v2, v[4:5], off glc slc
	v_min_u32_e32 v1, 8, v21
	v_and_b32_e32 v10, 3, v44
	v_add_co_u32_e32 v10, vcc, v10, v1
	v_addc_co_u32_e64 v11, s[18:19], 0, 0, vcc
	v_mov_b32_e32 v62, 0
	v_cmp_lt_u64_e32 vcc, 4, v[10:11]
	v_mov_b32_e32 v26, 0
	s_and_saveexec_b64 s[18:19], vcc
	s_cbranch_execz .LBB4_116
; %bb.115:                              ;   in Loop: Header=BB4_114 Depth=3
	global_load_dword v26, v[4:5], off offset:4 glc slc
.LBB4_116:                              ;   in Loop: Header=BB4_114 Depth=3
	s_or_b64 exec, exec, s[18:19]
	v_cmp_lt_u64_e32 vcc, 8, v[10:11]
	s_and_saveexec_b64 s[18:19], vcc
	s_cbranch_execz .LBB4_118
; %bb.117:                              ;   in Loop: Header=BB4_114 Depth=3
	global_load_dword v62, v[4:5], off offset:8 glc slc
.LBB4_118:                              ;   in Loop: Header=BB4_114 Depth=3
	s_or_b64 exec, exec, s[18:19]
	v_ashrrev_i32_e32 v1, 31, v0
	v_lshlrev_b64 v[4:5], 4, v[0:1]
	v_add_co_u32_e32 v10, vcc, v49, v4
	v_addc_co_u32_e32 v11, vcc, v31, v5, vcc
	global_load_dwordx4 v[16:19], v[10:11], off glc slc
	v_cmp_eq_u32_e32 vcc, 0, v24
	s_and_saveexec_b64 s[48:49], vcc
	s_cbranch_execz .LBB4_130
; %bb.119:                              ;   in Loop: Header=BB4_114 Depth=3
	s_waitcnt vmcnt(0)
	v_cmp_ne_u32_e32 vcc, v8, v17
	v_cmp_ne_u32_e64 s[18:19], v8, v19
	s_or_b64 s[18:19], vcc, s[18:19]
	v_mov_b32_e32 v24, 0
	s_and_saveexec_b64 s[50:51], s[18:19]
	s_cbranch_execz .LBB4_129
; %bb.120:                              ;   in Loop: Header=BB4_114 Depth=3
	s_mov_b32 s56, 1
	s_mov_b64 s[52:53], 0
	v_mov_b32_e32 v24, 0
	s_branch .LBB4_122
.LBB4_121:                              ;   in Loop: Header=BB4_122 Depth=4
	s_or_b64 exec, exec, s[54:55]
	s_and_b64 s[18:19], exec, s[18:19]
	s_or_b64 s[52:53], s[18:19], s[52:53]
	s_andn2_b64 exec, exec, s[52:53]
	s_cbranch_execz .LBB4_128
.LBB4_122:                              ;   Parent Loop BB4_21 Depth=1
                                        ;     Parent Loop BB4_70 Depth=2
                                        ;       Parent Loop BB4_114 Depth=3
                                        ; =>      This Inner Loop Header: Depth=4
	global_load_dwordx4 v[16:19], v[10:11], off glc slc
	s_add_i32 s56, s56, 1
	s_cmpk_lg_i32 s56, 0x2710
	s_cbranch_scc1 .LBB4_126
; %bb.123:                              ;   in Loop: Header=BB4_122 Depth=4
	s_trap 2
	ds_read_b64 v[22:23], v0
	s_waitcnt vmcnt(0) lgkmcnt(0)
	flat_load_dword v1, v[22:23] glc
	s_waitcnt vmcnt(0) lgkmcnt(0)
	buffer_invl2
	buffer_wbinvl1_vol
	v_cmp_ne_u32_e32 vcc, 0, v1
	s_and_saveexec_b64 s[18:19], vcc
	s_cbranch_execz .LBB4_125
; %bb.124:                              ;   in Loop: Header=BB4_122 Depth=4
	v_mov_b32_e32 v24, 1
	ds_write_b32 v0, v1
	s_trap 2
.LBB4_125:                              ;   in Loop: Header=BB4_122 Depth=4
	s_or_b64 exec, exec, s[18:19]
	s_mov_b32 s56, 0
	v_mov_b32_e32 v1, v24
	v_cmp_eq_u32_e32 vcc, 0, v1
	s_mov_b64 s[18:19], -1
	s_and_saveexec_b64 s[54:55], vcc
	s_cbranch_execz .LBB4_121
	s_branch .LBB4_127
.LBB4_126:                              ;   in Loop: Header=BB4_122 Depth=4
	v_mov_b32_e32 v1, 0
	v_cmp_eq_u32_e32 vcc, 0, v1
	s_mov_b64 s[18:19], -1
	s_and_saveexec_b64 s[54:55], vcc
	s_cbranch_execz .LBB4_121
.LBB4_127:                              ;   in Loop: Header=BB4_122 Depth=4
	s_waitcnt vmcnt(0)
	v_cmp_eq_u32_e32 vcc, v8, v17
	v_cmp_eq_u32_e64 s[18:19], v8, v19
	s_and_b64 s[18:19], vcc, s[18:19]
	s_orn2_b64 s[18:19], s[18:19], exec
	s_branch .LBB4_121
.LBB4_128:                              ;   in Loop: Header=BB4_114 Depth=3
	s_or_b64 exec, exec, s[52:53]
.LBB4_129:                              ;   in Loop: Header=BB4_114 Depth=3
	s_or_b64 exec, exec, s[50:51]
.LBB4_130:                              ;   in Loop: Header=BB4_114 Depth=3
	s_or_b64 exec, exec, s[48:49]
	s_waitcnt vmcnt(0)
	v_cmp_ne_u16_sdwa vcc, v16, v41 src0_sel:BYTE_0 src1_sel:DWORD
	v_mov_b32_e32 v1, 0
	v_mov_b32_e32 v10, 0
	s_and_saveexec_b64 s[18:19], vcc
	s_cbranch_execz .LBB4_138
; %bb.131:                              ;   in Loop: Header=BB4_114 Depth=3
	v_cmp_ne_u16_sdwa vcc, sext(v16), s63 src0_sel:BYTE_0 src1_sel:DWORD
	v_bfrev_b32_e32 v10, 1
	s_and_saveexec_b64 s[48:49], vcc
	s_cbranch_execz .LBB4_137
; %bb.132:                              ;   in Loop: Header=BB4_114 Depth=3
	v_and_b32_e32 v10, 0x7c, v16
	v_and_b32_e32 v11, 3, v16
	v_cmp_ne_u32_e32 vcc, s64, v10
                                        ; implicit-def: $vgpr10
	s_and_saveexec_b64 s[50:51], vcc
	s_xor_b64 s[50:51], exec, s[50:51]
	s_cbranch_execz .LBB4_134
; %bb.133:                              ;   in Loop: Header=BB4_114 Depth=3
	v_ffbh_u32_e32 v22, v11
	v_min_u32_e32 v27, 32, v22
	v_bfe_u32 v10, v16, 2, 5
	v_subrev_u32_e32 v22, 29, v27
	v_lshlrev_b64 v[22:23], v22, v[16:17]
	v_sub_u32_e32 v17, 30, v27
	v_cmp_eq_u32_e32 vcc, 0, v10
	v_cndmask_b32_e32 v10, v10, v17, vcc
	v_and_b32_e32 v22, 3, v22
	v_lshlrev_b32_e32 v17, 24, v16
	v_lshl_add_u32 v10, v10, 23, v25
	v_cndmask_b32_e32 v11, v11, v22, vcc
	v_and_or_b32 v10, v17, s65, v10
	v_lshl_or_b32 v10, v11, 21, v10
                                        ; implicit-def: $vgpr11
.LBB4_134:                              ;   in Loop: Header=BB4_114 Depth=3
	s_andn2_saveexec_b64 s[50:51], s[50:51]
; %bb.135:                              ;   in Loop: Header=BB4_114 Depth=3
	v_cmp_gt_i16_sdwa vcc, sext(v16), v30 src0_sel:BYTE_0 src1_sel:DWORD
	v_cndmask_b32_e32 v10, v47, v6, vcc
	v_cmp_eq_u32_e32 vcc, 0, v11
	v_cndmask_b32_e32 v10, v7, v10, vcc
; %bb.136:                              ;   in Loop: Header=BB4_114 Depth=3
	s_or_b64 exec, exec, s[50:51]
.LBB4_137:                              ;   in Loop: Header=BB4_114 Depth=3
	s_or_b64 exec, exec, s[48:49]
.LBB4_138:                              ;   in Loop: Header=BB4_114 Depth=3
	s_or_b64 exec, exec, s[18:19]
	v_lshlrev_b32_e32 v27, 3, v44
	v_alignbit_b32 v40, v26, v2, v27
	v_cmp_ne_u16_sdwa vcc, v40, v41 src0_sel:BYTE_0 src1_sel:DWORD
	s_and_saveexec_b64 s[18:19], vcc
	s_cbranch_execz .LBB4_146
; %bb.139:                              ;   in Loop: Header=BB4_114 Depth=3
	v_cmp_ne_u16_sdwa vcc, sext(v40), s63 src0_sel:BYTE_0 src1_sel:DWORD
	v_bfrev_b32_e32 v1, 1
	s_and_saveexec_b64 s[48:49], vcc
	s_cbranch_execz .LBB4_145
; %bb.140:                              ;   in Loop: Header=BB4_114 Depth=3
	v_and_b32_e32 v1, 0x7c, v40
	v_and_b32_e32 v2, 3, v40
	v_cmp_ne_u32_e32 vcc, s64, v1
                                        ; implicit-def: $vgpr1
	s_and_saveexec_b64 s[50:51], vcc
	s_xor_b64 s[50:51], exec, s[50:51]
	s_cbranch_execz .LBB4_142
; %bb.141:                              ;   in Loop: Header=BB4_114 Depth=3
	v_ffbh_u32_e32 v11, v2
	v_bfe_u32 v1, v40, 2, 5
	v_min_u32_e32 v11, 32, v11
	v_subrev_u32_e32 v17, 29, v11
	v_sub_u32_e32 v11, 30, v11
	v_cmp_eq_u32_e32 vcc, 0, v1
	v_lshlrev_b64 v[22:23], v17, v[40:41]
	v_cndmask_b32_e32 v1, v1, v11, vcc
	v_and_b32_e32 v17, 3, v22
	v_lshlrev_b32_e32 v11, 24, v40
	v_lshl_add_u32 v1, v1, 23, v25
	v_cndmask_b32_e32 v2, v2, v17, vcc
	v_and_or_b32 v1, v11, s65, v1
	v_lshl_or_b32 v1, v2, 21, v1
                                        ; implicit-def: $vgpr2
.LBB4_142:                              ;   in Loop: Header=BB4_114 Depth=3
	s_andn2_saveexec_b64 s[50:51], s[50:51]
; %bb.143:                              ;   in Loop: Header=BB4_114 Depth=3
	v_cmp_gt_i16_sdwa vcc, sext(v40), v30 src0_sel:BYTE_0 src1_sel:DWORD
	v_cndmask_b32_e32 v1, v47, v6, vcc
	v_cmp_eq_u32_e32 vcc, 0, v2
	v_cndmask_b32_e32 v1, v7, v1, vcc
; %bb.144:                              ;   in Loop: Header=BB4_114 Depth=3
	s_or_b64 exec, exec, s[50:51]
.LBB4_145:                              ;   in Loop: Header=BB4_114 Depth=3
	s_or_b64 exec, exec, s[48:49]
.LBB4_146:                              ;   in Loop: Header=BB4_114 Depth=3
	s_or_b64 exec, exec, s[18:19]
	v_mul_f32_e32 v17, v10, v1
	v_and_b32_sdwa v2, v17, s66 dst_sel:DWORD dst_unused:UNUSED_PAD src0_sel:BYTE_3 src1_sel:DWORD
	v_and_b32_e32 v22, 0x7f800000, v17
	v_mov_b32_e32 v23, v41
	v_and_b32_e32 v10, 0x7fffff, v17
	v_mov_b32_e32 v11, v41
	v_or_b32_e32 v1, 0x7b, v2
	v_cmp_ne_u64_e32 vcc, s[38:39], v[22:23]
	s_and_saveexec_b64 s[18:19], vcc
	s_xor_b64 s[48:49], exec, s[18:19]
	s_cbranch_execz .LBB4_156
; %bb.147:                              ;   in Loop: Header=BB4_114 Depth=3
	v_and_b32_e32 v22, 0x7fffffff, v17
	v_mov_b32_e32 v23, v41
	v_cmp_gt_u64_e32 vcc, s[40:41], v[22:23]
	s_and_saveexec_b64 s[50:51], vcc
	s_cbranch_execz .LBB4_155
; %bb.148:                              ;   in Loop: Header=BB4_114 Depth=3
	v_cmp_ne_u32_e32 vcc, 0, v17
	v_mov_b32_e32 v1, 0
	s_and_saveexec_b64 s[52:53], vcc
	s_cbranch_execz .LBB4_154
; %bb.149:                              ;   in Loop: Header=BB4_114 Depth=3
	v_bfe_u32 v1, v17, 23, 8
	v_sub_u32_e32 v22, 0x71, v1
	v_cmp_gt_u32_e32 vcc, s67, v1
	v_add_u32_e32 v17, 0xffffff81, v1
	v_cndmask_b32_e32 v22, 0, v22, vcc
	v_cmp_eq_u32_e32 vcc, 0, v1
	v_cndmask_b32_e32 v1, v17, v54, vcc
	v_cndmask_b32_e32 v17, v22, v55, vcc
	v_or_b32_e32 v23, 0x800000, v10
	v_add_u32_e32 v22, 21, v17
	v_cndmask_b32_e32 v10, v23, v10, vcc
	v_lshlrev_b64 v[22:23], v22, -1
	v_not_b32_e32 v22, v22
	v_and_b32_e32 v36, v10, v22
	v_add_u32_e32 v22, 20, v17
	v_lshrrev_b64 v[10:11], v17, v[10:11]
	v_not_b32_e32 v23, v23
	v_lshlrev_b64 v[50:51], v22, 1
	v_lshrrev_b32_e32 v22, 23, v10
	v_and_b32_e32 v37, 0, v23
	v_add3_u32 v22, v17, v1, v22
	v_bfe_u32 v1, v10, 21, 1
	v_add_u32_e32 v1, -1, v1
	v_cmp_eq_u64_e32 vcc, v[36:37], v[50:51]
	v_cndmask_b32_e32 v1, 0, v1, vcc
	v_add_u32_e32 v1, v1, v10
	v_and_b32_e32 v1, 0x1fffff, v1
	v_add_co_u32_e32 v10, vcc, v1, v10
	v_add_u32_e32 v17, 14, v22
	v_addc_co_u32_e32 v11, vcc, 0, v11, vcc
	v_cmp_ne_u32_e32 vcc, 0, v17
                                        ; implicit-def: $vgpr1
	s_and_saveexec_b64 s[18:19], vcc
	s_xor_b64 s[18:19], exec, s[18:19]
; %bb.150:                              ;   in Loop: Header=BB4_114 Depth=3
	v_add_u32_e32 v1, 15, v22
	v_cmp_lt_u64_e32 vcc, s[42:43], v[10:11]
	v_cndmask_b32_e32 v1, v17, v1, vcc
	v_cndmask_b32_e64 v17, 0, 1, vcc
	v_lshrrev_b64 v[10:11], v17, v[10:11]
; %bb.151:                              ;   in Loop: Header=BB4_114 Depth=3
	s_andn2_saveexec_b64 s[18:19], s[18:19]
; %bb.152:                              ;   in Loop: Header=BB4_114 Depth=3
	v_bfe_u32 v1, v10, 23, 1
; %bb.153:                              ;   in Loop: Header=BB4_114 Depth=3
	s_or_b64 exec, exec, s[18:19]
	v_lshrrev_b64 v[10:11], 21, v[10:11]
	v_cmp_gt_i32_e32 vcc, 32, v1
	v_cndmask_b32_e32 v11, 0, v11, vcc
	v_cndmask_b32_e32 v10, 3, v10, vcc
	v_cmp_eq_u32_e32 vcc, 0, v1
	v_min_i32_e32 v1, 31, v1
	v_cmp_eq_u64_e64 s[18:19], 0, v[10:11]
	v_lshlrev_b32_e32 v1, 2, v1
	v_and_or_b32 v1, v10, 3, v1
	s_and_b64 s[18:19], vcc, s[18:19]
	v_cndmask_b32_e64 v1, v1, 0, s[18:19]
	v_or_b32_e32 v1, v1, v2
.LBB4_154:                              ;   in Loop: Header=BB4_114 Depth=3
	s_or_b64 exec, exec, s[52:53]
.LBB4_155:                              ;   in Loop: Header=BB4_114 Depth=3
	s_or_b64 exec, exec, s[50:51]
                                        ; implicit-def: $vgpr17
                                        ; implicit-def: $vgpr10_vgpr11
.LBB4_156:                              ;   in Loop: Header=BB4_114 Depth=3
	s_andn2_saveexec_b64 s[18:19], s[48:49]
; %bb.157:                              ;   in Loop: Header=BB4_114 Depth=3
	v_or_b32_sdwa v2, v17, s68 dst_sel:DWORD dst_unused:UNUSED_PAD src0_sel:BYTE_3 src1_sel:DWORD
	v_cmp_eq_u64_e32 vcc, 0, v[10:11]
	v_cndmask_b32_e32 v1, v2, v1, vcc
; %bb.158:                              ;   in Loop: Header=BB4_114 Depth=3
	s_or_b64 exec, exec, s[18:19]
	v_lshrrev_b16_e32 v10, 8, v16
	v_cmp_ne_u16_e32 vcc, 0, v10
	v_mov_b32_e32 v2, 0
	v_mov_b32_e32 v17, 0
	s_and_saveexec_b64 s[18:19], vcc
	s_cbranch_execz .LBB4_166
; %bb.159:                              ;   in Loop: Header=BB4_114 Depth=3
	v_cmp_ne_u16_e32 vcc, s66, v10
	v_bfrev_b32_e32 v17, 1
	s_and_saveexec_b64 s[48:49], vcc
	s_cbranch_execz .LBB4_165
; %bb.160:                              ;   in Loop: Header=BB4_114 Depth=3
	v_and_b32_e32 v11, 0x7c, v10
	v_and_b32_e32 v22, 3, v10
	v_cmp_ne_u32_e32 vcc, s64, v11
                                        ; implicit-def: $vgpr17
	s_and_saveexec_b64 s[50:51], vcc
	s_xor_b64 s[50:51], exec, s[50:51]
	s_cbranch_execz .LBB4_162
; %bb.161:                              ;   in Loop: Header=BB4_114 Depth=3
	v_ffbh_u32_e32 v23, v22
	v_min_u32_e32 v23, 32, v23
	v_mov_b32_e32 v11, v41
	v_subrev_u32_e32 v36, 29, v23
	v_bfe_u32 v17, v10, 2, 5
	v_lshlrev_b64 v[10:11], v36, v[10:11]
	v_sub_u32_e32 v11, 30, v23
	v_cmp_eq_u32_e32 vcc, 0, v17
	v_cndmask_b32_e32 v11, v17, v11, vcc
	v_and_b32_e32 v10, 3, v10
	v_lshlrev_b32_e32 v17, 16, v16
	v_lshl_add_u32 v11, v11, 23, v25
	v_cndmask_b32_e32 v10, v22, v10, vcc
	v_and_or_b32 v11, v17, s65, v11
	v_lshl_or_b32 v17, v10, 21, v11
                                        ; implicit-def: $vgpr22
.LBB4_162:                              ;   in Loop: Header=BB4_114 Depth=3
	s_andn2_saveexec_b64 s[50:51], s[50:51]
; %bb.163:                              ;   in Loop: Header=BB4_114 Depth=3
	v_cmp_lt_i16_e32 vcc, -1, v16
	v_cndmask_b32_e32 v10, v47, v6, vcc
	v_cmp_eq_u32_e32 vcc, 0, v22
	v_cndmask_b32_e32 v17, v7, v10, vcc
; %bb.164:                              ;   in Loop: Header=BB4_114 Depth=3
	s_or_b64 exec, exec, s[50:51]
.LBB4_165:                              ;   in Loop: Header=BB4_114 Depth=3
	s_or_b64 exec, exec, s[48:49]
.LBB4_166:                              ;   in Loop: Header=BB4_114 Depth=3
	s_or_b64 exec, exec, s[18:19]
	v_lshrrev_b16_e32 v10, 8, v40
	v_cmp_ne_u16_e32 vcc, 0, v10
	s_and_saveexec_b64 s[18:19], vcc
	s_cbranch_execz .LBB4_174
; %bb.167:                              ;   in Loop: Header=BB4_114 Depth=3
	v_cmp_ne_u16_e32 vcc, s66, v10
	v_bfrev_b32_e32 v2, 1
	s_and_saveexec_b64 s[48:49], vcc
	s_cbranch_execz .LBB4_173
; %bb.168:                              ;   in Loop: Header=BB4_114 Depth=3
	v_and_b32_e32 v2, 0x7c, v10
	v_and_b32_e32 v22, 3, v10
	v_cmp_ne_u32_e32 vcc, s64, v2
                                        ; implicit-def: $vgpr2
	s_and_saveexec_b64 s[50:51], vcc
	s_xor_b64 s[50:51], exec, s[50:51]
	s_cbranch_execz .LBB4_170
; %bb.169:                              ;   in Loop: Header=BB4_114 Depth=3
	v_ffbh_u32_e32 v23, v22
	v_min_u32_e32 v23, 32, v23
	v_mov_b32_e32 v11, v41
	v_subrev_u32_e32 v36, 29, v23
	v_bfe_u32 v2, v10, 2, 5
	v_lshlrev_b64 v[10:11], v36, v[10:11]
	v_sub_u32_e32 v11, 30, v23
	v_cmp_eq_u32_e32 vcc, 0, v2
	v_cndmask_b32_e32 v2, v2, v11, vcc
	v_and_b32_e32 v10, 3, v10
	v_lshlrev_b32_e32 v11, 16, v40
	v_lshl_add_u32 v2, v2, 23, v25
	v_cndmask_b32_e32 v10, v22, v10, vcc
	v_and_or_b32 v2, v11, s65, v2
	v_lshl_or_b32 v2, v10, 21, v2
                                        ; implicit-def: $vgpr22
.LBB4_170:                              ;   in Loop: Header=BB4_114 Depth=3
	s_andn2_saveexec_b64 s[50:51], s[50:51]
; %bb.171:                              ;   in Loop: Header=BB4_114 Depth=3
	v_cmp_lt_i16_e32 vcc, -1, v40
	v_cndmask_b32_e32 v2, v47, v6, vcc
	v_cmp_eq_u32_e32 vcc, 0, v22
	v_cndmask_b32_e32 v2, v7, v2, vcc
; %bb.172:                              ;   in Loop: Header=BB4_114 Depth=3
	s_or_b64 exec, exec, s[50:51]
.LBB4_173:                              ;   in Loop: Header=BB4_114 Depth=3
	s_or_b64 exec, exec, s[48:49]
.LBB4_174:                              ;   in Loop: Header=BB4_114 Depth=3
	s_or_b64 exec, exec, s[18:19]
	v_mul_f32_e32 v46, v17, v2
	v_and_b32_sdwa v2, v46, s66 dst_sel:DWORD dst_unused:UNUSED_PAD src0_sel:BYTE_3 src1_sel:DWORD
	v_and_b32_e32 v22, 0x7f800000, v46
	v_mov_b32_e32 v23, v41
	v_and_b32_e32 v10, 0x7fffff, v46
	v_mov_b32_e32 v11, v41
	v_or_b32_e32 v17, 0x7b, v2
	v_cmp_ne_u64_e32 vcc, s[38:39], v[22:23]
	s_and_saveexec_b64 s[18:19], vcc
	s_xor_b64 s[48:49], exec, s[18:19]
	s_cbranch_execz .LBB4_184
; %bb.175:                              ;   in Loop: Header=BB4_114 Depth=3
	v_and_b32_e32 v22, 0x7fffffff, v46
	v_mov_b32_e32 v23, v41
	v_cmp_gt_u64_e32 vcc, s[40:41], v[22:23]
	s_and_saveexec_b64 s[50:51], vcc
	s_cbranch_execz .LBB4_183
; %bb.176:                              ;   in Loop: Header=BB4_114 Depth=3
	v_cmp_ne_u32_e32 vcc, 0, v46
	v_mov_b32_e32 v17, 0
	s_and_saveexec_b64 s[52:53], vcc
	s_cbranch_execz .LBB4_182
; %bb.177:                              ;   in Loop: Header=BB4_114 Depth=3
	v_bfe_u32 v17, v46, 23, 8
	v_sub_u32_e32 v23, 0x71, v17
	v_cmp_gt_u32_e32 vcc, s67, v17
	v_cndmask_b32_e32 v23, 0, v23, vcc
	v_cmp_eq_u32_e32 vcc, 0, v17
	v_add_u32_e32 v22, 0xffffff81, v17
	v_cndmask_b32_e32 v46, v23, v55, vcc
	v_cndmask_b32_e32 v17, v22, v54, vcc
	v_add_u32_e32 v22, 21, v46
	v_or_b32_e32 v36, 0x800000, v10
	v_lshlrev_b64 v[22:23], v22, -1
	v_cndmask_b32_e32 v10, v36, v10, vcc
	v_not_b32_e32 v22, v22
	v_and_b32_e32 v36, v10, v22
	v_add_u32_e32 v22, 20, v46
	v_lshrrev_b64 v[10:11], v46, v[10:11]
	v_not_b32_e32 v23, v23
	v_lshlrev_b64 v[50:51], v22, 1
	v_lshrrev_b32_e32 v22, 23, v10
	v_and_b32_e32 v37, 0, v23
	v_add3_u32 v23, v46, v17, v22
	v_bfe_u32 v17, v10, 21, 1
	v_add_u32_e32 v17, -1, v17
	v_cmp_eq_u64_e32 vcc, v[36:37], v[50:51]
	v_cndmask_b32_e32 v17, 0, v17, vcc
	v_add_u32_e32 v17, v17, v10
	v_and_b32_e32 v17, 0x1fffff, v17
	v_add_co_u32_e32 v10, vcc, v17, v10
	v_add_u32_e32 v22, 14, v23
	v_addc_co_u32_e32 v11, vcc, 0, v11, vcc
	v_cmp_ne_u32_e32 vcc, 0, v22
                                        ; implicit-def: $vgpr17
	s_and_saveexec_b64 s[18:19], vcc
	s_xor_b64 s[18:19], exec, s[18:19]
; %bb.178:                              ;   in Loop: Header=BB4_114 Depth=3
	v_add_u32_e32 v17, 15, v23
	v_cmp_lt_u64_e32 vcc, s[42:43], v[10:11]
	v_cndmask_b32_e32 v17, v22, v17, vcc
	v_cndmask_b32_e64 v22, 0, 1, vcc
	v_lshrrev_b64 v[10:11], v22, v[10:11]
; %bb.179:                              ;   in Loop: Header=BB4_114 Depth=3
	s_andn2_saveexec_b64 s[18:19], s[18:19]
; %bb.180:                              ;   in Loop: Header=BB4_114 Depth=3
	v_bfe_u32 v17, v10, 23, 1
; %bb.181:                              ;   in Loop: Header=BB4_114 Depth=3
	s_or_b64 exec, exec, s[18:19]
	v_lshrrev_b64 v[10:11], 21, v[10:11]
	v_cmp_gt_i32_e32 vcc, 32, v17
	v_cndmask_b32_e32 v11, 0, v11, vcc
	v_cndmask_b32_e32 v10, 3, v10, vcc
	v_cmp_eq_u64_e64 s[18:19], 0, v[10:11]
	v_min_i32_e32 v11, 31, v17
	v_cmp_eq_u32_e32 vcc, 0, v17
	v_lshlrev_b32_e32 v11, 2, v11
	v_and_or_b32 v10, v10, 3, v11
	s_and_b64 s[18:19], vcc, s[18:19]
	v_cndmask_b32_e64 v10, v10, 0, s[18:19]
	v_or_b32_e32 v17, v10, v2
.LBB4_182:                              ;   in Loop: Header=BB4_114 Depth=3
	s_or_b64 exec, exec, s[52:53]
.LBB4_183:                              ;   in Loop: Header=BB4_114 Depth=3
	s_or_b64 exec, exec, s[50:51]
                                        ; implicit-def: $vgpr46
                                        ; implicit-def: $vgpr10_vgpr11
.LBB4_184:                              ;   in Loop: Header=BB4_114 Depth=3
	s_andn2_saveexec_b64 s[18:19], s[48:49]
; %bb.185:                              ;   in Loop: Header=BB4_114 Depth=3
	v_or_b32_sdwa v2, v46, s68 dst_sel:DWORD dst_unused:UNUSED_PAD src0_sel:BYTE_3 src1_sel:DWORD
	v_cmp_eq_u64_e32 vcc, 0, v[10:11]
	v_cndmask_b32_e32 v17, v2, v17, vcc
; %bb.186:                              ;   in Loop: Header=BB4_114 Depth=3
	s_or_b64 exec, exec, s[18:19]
	v_lshrrev_b32_e32 v2, 16, v16
	v_cmp_ne_u16_sdwa vcc, v2, v41 src0_sel:BYTE_0 src1_sel:DWORD
	v_mov_b32_e32 v11, 0
	v_mov_b32_e32 v10, 0
	s_and_saveexec_b64 s[18:19], vcc
	s_cbranch_execz .LBB4_194
; %bb.187:                              ;   in Loop: Header=BB4_114 Depth=3
	v_cmp_ne_u16_sdwa vcc, v2, s66 src0_sel:BYTE_0 src1_sel:DWORD
	v_bfrev_b32_e32 v10, 1
	s_and_saveexec_b64 s[48:49], vcc
	s_cbranch_execz .LBB4_193
; %bb.188:                              ;   in Loop: Header=BB4_114 Depth=3
	v_and_b32_e32 v10, 0x7c0000, v16
	v_bfe_u32 v46, v16, 16, 2
	v_cmp_ne_u32_e32 vcc, s69, v10
                                        ; implicit-def: $vgpr10
	s_and_saveexec_b64 s[50:51], vcc
	s_xor_b64 s[50:51], exec, s[50:51]
	s_cbranch_execz .LBB4_190
; %bb.189:                              ;   in Loop: Header=BB4_114 Depth=3
	v_ffbh_u32_e32 v22, v46
	v_min_u32_e32 v36, 32, v22
	v_bfe_u32 v10, v16, 18, 5
	v_subrev_u32_e32 v22, 29, v36
	v_lshlrev_b64 v[22:23], v22, v[2:3]
	v_sub_u32_e32 v2, 30, v36
	v_cmp_eq_u32_e32 vcc, 0, v10
	v_and_b32_e32 v22, 3, v22
	v_cndmask_b32_e32 v2, v10, v2, vcc
	v_cndmask_b32_e32 v10, v46, v22, vcc
	v_lshlrev_b32_e32 v22, 8, v16
	v_lshl_add_u32 v2, v2, 23, v25
	v_and_or_b32 v2, v22, s65, v2
	v_lshl_or_b32 v10, v10, 21, v2
                                        ; implicit-def: $vgpr46
                                        ; implicit-def: $vgpr2
.LBB4_190:                              ;   in Loop: Header=BB4_114 Depth=3
	s_andn2_saveexec_b64 s[50:51], s[50:51]
; %bb.191:                              ;   in Loop: Header=BB4_114 Depth=3
	v_cmp_gt_i16_sdwa vcc, sext(v2), v30 src0_sel:BYTE_0 src1_sel:DWORD
	v_cndmask_b32_e32 v2, v47, v6, vcc
	v_cmp_eq_u32_e32 vcc, 0, v46
	v_cndmask_b32_e32 v10, v7, v2, vcc
; %bb.192:                              ;   in Loop: Header=BB4_114 Depth=3
	s_or_b64 exec, exec, s[50:51]
.LBB4_193:                              ;   in Loop: Header=BB4_114 Depth=3
	s_or_b64 exec, exec, s[48:49]
.LBB4_194:                              ;   in Loop: Header=BB4_114 Depth=3
	s_or_b64 exec, exec, s[18:19]
	v_and_b32_sdwa v22, v40, s62 dst_sel:DWORD dst_unused:UNUSED_PAD src0_sel:WORD_1 src1_sel:DWORD
	v_lshrrev_b32_e32 v2, 16, v40
	v_cmp_ne_u16_e32 vcc, 0, v22
	s_and_saveexec_b64 s[18:19], vcc
	s_cbranch_execz .LBB4_202
; %bb.195:                              ;   in Loop: Header=BB4_114 Depth=3
	v_cmp_ne_u16_e32 vcc, s66, v22
	v_bfrev_b32_e32 v11, 1
	s_and_saveexec_b64 s[48:49], vcc
	s_cbranch_execz .LBB4_201
; %bb.196:                              ;   in Loop: Header=BB4_114 Depth=3
	v_and_b32_e32 v11, 0x7c0000, v40
	v_bfe_u32 v46, v40, 16, 2
	v_cmp_ne_u32_e32 vcc, s69, v11
                                        ; implicit-def: $vgpr11
	s_and_saveexec_b64 s[50:51], vcc
	s_xor_b64 s[50:51], exec, s[50:51]
	s_cbranch_execz .LBB4_198
; %bb.197:                              ;   in Loop: Header=BB4_114 Depth=3
	v_ffbh_u32_e32 v22, v46
	v_min_u32_e32 v36, 32, v22
	v_lshrrev_b32_e32 v2, 16, v40
	v_bfe_u32 v11, v40, 18, 5
	v_subrev_u32_e32 v22, 29, v36
	v_lshlrev_b64 v[22:23], v22, v[2:3]
	v_sub_u32_e32 v2, 30, v36
	v_cmp_eq_u32_e32 vcc, 0, v11
	v_and_b32_e32 v22, 3, v22
	v_cndmask_b32_e32 v2, v11, v2, vcc
	v_cndmask_b32_e32 v11, v46, v22, vcc
	v_lshlrev_b32_e32 v22, 8, v40
	v_lshl_add_u32 v2, v2, 23, v25
	v_and_or_b32 v2, v22, s65, v2
	v_lshl_or_b32 v11, v11, 21, v2
                                        ; implicit-def: $vgpr46
                                        ; implicit-def: $vgpr2
.LBB4_198:                              ;   in Loop: Header=BB4_114 Depth=3
	s_andn2_saveexec_b64 s[50:51], s[50:51]
; %bb.199:                              ;   in Loop: Header=BB4_114 Depth=3
	v_cmp_gt_i16_sdwa vcc, sext(v2), v30 src0_sel:BYTE_0 src1_sel:DWORD
	v_cndmask_b32_e32 v2, v47, v6, vcc
	v_cmp_eq_u32_e32 vcc, 0, v46
	v_cndmask_b32_e32 v11, v7, v2, vcc
; %bb.200:                              ;   in Loop: Header=BB4_114 Depth=3
	s_or_b64 exec, exec, s[50:51]
.LBB4_201:                              ;   in Loop: Header=BB4_114 Depth=3
	s_or_b64 exec, exec, s[48:49]
.LBB4_202:                              ;   in Loop: Header=BB4_114 Depth=3
	s_or_b64 exec, exec, s[18:19]
	v_mul_f32_e32 v46, v10, v11
	v_and_b32_sdwa v2, v46, s66 dst_sel:DWORD dst_unused:UNUSED_PAD src0_sel:BYTE_3 src1_sel:DWORD
	v_and_b32_e32 v22, 0x7f800000, v46
	v_mov_b32_e32 v23, v41
	v_and_b32_e32 v10, 0x7fffff, v46
	v_mov_b32_e32 v11, v41
	v_or_b32_e32 v61, 0x7b, v2
	v_cmp_ne_u64_e32 vcc, s[38:39], v[22:23]
	s_and_saveexec_b64 s[18:19], vcc
	s_xor_b64 s[48:49], exec, s[18:19]
	s_cbranch_execz .LBB4_212
; %bb.203:                              ;   in Loop: Header=BB4_114 Depth=3
	v_and_b32_e32 v22, 0x7fffffff, v46
	v_mov_b32_e32 v23, v41
	v_cmp_gt_u64_e32 vcc, s[40:41], v[22:23]
	s_and_saveexec_b64 s[50:51], vcc
	s_cbranch_execz .LBB4_211
; %bb.204:                              ;   in Loop: Header=BB4_114 Depth=3
	v_cmp_ne_u32_e32 vcc, 0, v46
	v_mov_b32_e32 v61, 0
	s_and_saveexec_b64 s[52:53], vcc
	s_cbranch_execz .LBB4_210
; %bb.205:                              ;   in Loop: Header=BB4_114 Depth=3
	v_bfe_u32 v22, v46, 23, 8
	v_sub_u32_e32 v36, 0x71, v22
	v_cmp_gt_u32_e32 vcc, s67, v22
	v_cndmask_b32_e32 v36, 0, v36, vcc
	v_cmp_eq_u32_e32 vcc, 0, v22
	v_cndmask_b32_e32 v61, v36, v55, vcc
	v_add_u32_e32 v23, 0xffffff81, v22
	v_add_u32_e32 v22, 21, v61
	v_or_b32_e32 v37, 0x800000, v10
	v_cndmask_b32_e32 v46, v23, v54, vcc
	v_lshlrev_b64 v[22:23], v22, -1
	v_cndmask_b32_e32 v10, v37, v10, vcc
	v_not_b32_e32 v22, v22
	v_and_b32_e32 v36, v10, v22
	v_add_u32_e32 v22, 20, v61
	v_lshrrev_b64 v[10:11], v61, v[10:11]
	v_not_b32_e32 v23, v23
	v_lshlrev_b64 v[50:51], v22, 1
	v_lshrrev_b32_e32 v22, 23, v10
	v_and_b32_e32 v37, 0, v23
	v_add3_u32 v23, v61, v46, v22
	v_bfe_u32 v46, v10, 21, 1
	v_add_u32_e32 v46, -1, v46
	v_cmp_eq_u64_e32 vcc, v[36:37], v[50:51]
	v_cndmask_b32_e32 v36, 0, v46, vcc
	v_add_u32_e32 v36, v36, v10
	v_and_b32_e32 v36, 0x1fffff, v36
	v_add_co_u32_e32 v10, vcc, v36, v10
	v_add_u32_e32 v22, 14, v23
	v_addc_co_u32_e32 v11, vcc, 0, v11, vcc
	v_cmp_ne_u32_e32 vcc, 0, v22
                                        ; implicit-def: $vgpr46
	s_and_saveexec_b64 s[18:19], vcc
	s_xor_b64 s[18:19], exec, s[18:19]
; %bb.206:                              ;   in Loop: Header=BB4_114 Depth=3
	v_add_u32_e32 v23, 15, v23
	v_cmp_lt_u64_e32 vcc, s[42:43], v[10:11]
	v_cndmask_b32_e32 v46, v22, v23, vcc
	v_cndmask_b32_e64 v22, 0, 1, vcc
	v_lshrrev_b64 v[10:11], v22, v[10:11]
; %bb.207:                              ;   in Loop: Header=BB4_114 Depth=3
	s_andn2_saveexec_b64 s[18:19], s[18:19]
; %bb.208:                              ;   in Loop: Header=BB4_114 Depth=3
	v_bfe_u32 v46, v10, 23, 1
; %bb.209:                              ;   in Loop: Header=BB4_114 Depth=3
	s_or_b64 exec, exec, s[18:19]
	v_lshrrev_b64 v[10:11], 21, v[10:11]
	v_cmp_gt_i32_e32 vcc, 32, v46
	v_cndmask_b32_e32 v11, 0, v11, vcc
	v_cndmask_b32_e32 v10, 3, v10, vcc
	v_cmp_eq_u64_e64 s[18:19], 0, v[10:11]
	v_min_i32_e32 v11, 31, v46
	v_cmp_eq_u32_e32 vcc, 0, v46
	v_lshlrev_b32_e32 v11, 2, v11
	v_and_or_b32 v10, v10, 3, v11
	s_and_b64 s[18:19], vcc, s[18:19]
	v_cndmask_b32_e64 v10, v10, 0, s[18:19]
	v_or_b32_e32 v61, v10, v2
.LBB4_210:                              ;   in Loop: Header=BB4_114 Depth=3
	s_or_b64 exec, exec, s[52:53]
.LBB4_211:                              ;   in Loop: Header=BB4_114 Depth=3
	s_or_b64 exec, exec, s[50:51]
                                        ; implicit-def: $vgpr46
                                        ; implicit-def: $vgpr10_vgpr11
.LBB4_212:                              ;   in Loop: Header=BB4_114 Depth=3
	s_andn2_saveexec_b64 s[18:19], s[48:49]
; %bb.213:                              ;   in Loop: Header=BB4_114 Depth=3
	v_or_b32_sdwa v2, v46, s68 dst_sel:DWORD dst_unused:UNUSED_PAD src0_sel:BYTE_3 src1_sel:DWORD
	v_cmp_eq_u64_e32 vcc, 0, v[10:11]
	v_cndmask_b32_e32 v61, v2, v61, vcc
; %bb.214:                              ;   in Loop: Header=BB4_114 Depth=3
	s_or_b64 exec, exec, s[18:19]
	v_cmp_lt_u32_e32 vcc, s37, v16
	v_mov_b32_e32 v10, 0
	v_mov_b32_e32 v11, 0
	s_and_saveexec_b64 s[18:19], vcc
	s_cbranch_execz .LBB4_222
; %bb.215:                              ;   in Loop: Header=BB4_114 Depth=3
	v_lshrrev_b32_e32 v2, 24, v16
	v_cmp_ne_u32_e32 vcc, s66, v2
	v_bfrev_b32_e32 v11, 1
	s_and_saveexec_b64 s[48:49], vcc
	s_cbranch_execz .LBB4_221
; %bb.216:                              ;   in Loop: Header=BB4_114 Depth=3
	v_and_b32_e32 v11, 0x7c000000, v16
	v_bfe_u32 v46, v16, 24, 2
	v_cmp_ne_u32_e32 vcc, s70, v11
                                        ; implicit-def: $vgpr11
	s_and_saveexec_b64 s[50:51], vcc
	s_xor_b64 s[50:51], exec, s[50:51]
	s_cbranch_execz .LBB4_218
; %bb.217:                              ;   in Loop: Header=BB4_114 Depth=3
	v_ffbh_u32_e32 v22, v46
	v_min_u32_e32 v36, 32, v22
	v_bfe_u32 v11, v16, 26, 5
	v_subrev_u32_e32 v22, 29, v36
	v_lshlrev_b64 v[22:23], v22, v[2:3]
	v_sub_u32_e32 v2, 30, v36
	v_cmp_eq_u32_e32 vcc, 0, v11
	v_cndmask_b32_e32 v2, v11, v2, vcc
	v_and_b32_e32 v22, 3, v22
	v_lshl_add_u32 v2, v2, 23, v25
	v_cndmask_b32_e32 v11, v46, v22, vcc
	v_and_or_b32 v2, v16, s65, v2
	v_lshl_or_b32 v11, v11, 21, v2
                                        ; implicit-def: $vgpr46
.LBB4_218:                              ;   in Loop: Header=BB4_114 Depth=3
	s_andn2_saveexec_b64 s[50:51], s[50:51]
; %bb.219:                              ;   in Loop: Header=BB4_114 Depth=3
	v_cmp_lt_i32_e32 vcc, -1, v16
	v_cndmask_b32_e32 v2, v47, v6, vcc
	v_cmp_eq_u32_e32 vcc, 0, v46
	v_cndmask_b32_e32 v11, v7, v2, vcc
; %bb.220:                              ;   in Loop: Header=BB4_114 Depth=3
	s_or_b64 exec, exec, s[50:51]
.LBB4_221:                              ;   in Loop: Header=BB4_114 Depth=3
	s_or_b64 exec, exec, s[48:49]
.LBB4_222:                              ;   in Loop: Header=BB4_114 Depth=3
	s_or_b64 exec, exec, s[18:19]
	v_cmp_lt_u32_e32 vcc, s37, v40
	s_and_saveexec_b64 s[18:19], vcc
	s_cbranch_execz .LBB4_230
; %bb.223:                              ;   in Loop: Header=BB4_114 Depth=3
	v_lshrrev_b32_e32 v2, 24, v40
	v_cmp_ne_u32_e32 vcc, s66, v2
	v_bfrev_b32_e32 v10, 1
	s_and_saveexec_b64 s[48:49], vcc
	s_cbranch_execz .LBB4_229
; %bb.224:                              ;   in Loop: Header=BB4_114 Depth=3
	v_and_b32_e32 v10, 0x7c000000, v40
	v_bfe_u32 v16, v40, 24, 2
	v_cmp_ne_u32_e32 vcc, s70, v10
                                        ; implicit-def: $vgpr10
	s_and_saveexec_b64 s[50:51], vcc
	s_xor_b64 s[50:51], exec, s[50:51]
	s_cbranch_execz .LBB4_226
; %bb.225:                              ;   in Loop: Header=BB4_114 Depth=3
	v_ffbh_u32_e32 v22, v16
	v_min_u32_e32 v36, 32, v22
	v_bfe_u32 v10, v40, 26, 5
	v_subrev_u32_e32 v22, 29, v36
	v_lshlrev_b64 v[22:23], v22, v[2:3]
	v_sub_u32_e32 v2, 30, v36
	v_cmp_eq_u32_e32 vcc, 0, v10
	v_cndmask_b32_e32 v2, v10, v2, vcc
	v_and_b32_e32 v22, 3, v22
	v_lshl_add_u32 v2, v2, 23, v25
	v_cndmask_b32_e32 v10, v16, v22, vcc
	v_and_or_b32 v2, v40, s65, v2
	v_lshl_or_b32 v10, v10, 21, v2
                                        ; implicit-def: $vgpr16
.LBB4_226:                              ;   in Loop: Header=BB4_114 Depth=3
	s_andn2_saveexec_b64 s[50:51], s[50:51]
; %bb.227:                              ;   in Loop: Header=BB4_114 Depth=3
	v_cmp_lt_i32_e32 vcc, -1, v40
	v_cndmask_b32_e32 v2, v47, v6, vcc
	v_cmp_eq_u32_e32 vcc, 0, v16
	v_cndmask_b32_e32 v10, v7, v2, vcc
; %bb.228:                              ;   in Loop: Header=BB4_114 Depth=3
	s_or_b64 exec, exec, s[50:51]
.LBB4_229:                              ;   in Loop: Header=BB4_114 Depth=3
	s_or_b64 exec, exec, s[48:49]
.LBB4_230:                              ;   in Loop: Header=BB4_114 Depth=3
	s_or_b64 exec, exec, s[18:19]
	v_mul_f32_e32 v10, v11, v10
	v_and_b32_sdwa v2, v10, s66 dst_sel:DWORD dst_unused:UNUSED_PAD src0_sel:BYTE_3 src1_sel:DWORD
	v_and_b32_e32 v22, 0x7f800000, v10
	v_mov_b32_e32 v23, v41
	v_and_b32_e32 v40, 0x7fffff, v10
	v_or_b32_e32 v16, 0x7b, v2
	v_cmp_ne_u64_e32 vcc, s[38:39], v[22:23]
	s_and_saveexec_b64 s[18:19], vcc
	s_xor_b64 s[48:49], exec, s[18:19]
	s_cbranch_execz .LBB4_240
; %bb.231:                              ;   in Loop: Header=BB4_114 Depth=3
	v_and_b32_e32 v22, 0x7fffffff, v10
	v_mov_b32_e32 v23, v41
	v_cmp_gt_u64_e32 vcc, s[40:41], v[22:23]
	s_and_saveexec_b64 s[50:51], vcc
	s_cbranch_execz .LBB4_239
; %bb.232:                              ;   in Loop: Header=BB4_114 Depth=3
	v_cmp_ne_u32_e32 vcc, 0, v10
	v_mov_b32_e32 v16, 0
	s_and_saveexec_b64 s[52:53], vcc
	s_cbranch_execz .LBB4_238
; %bb.233:                              ;   in Loop: Header=BB4_114 Depth=3
	v_bfe_u32 v10, v10, 23, 8
	v_sub_u32_e32 v16, 0x71, v10
	v_cmp_gt_u32_e32 vcc, s67, v10
	v_cndmask_b32_e32 v16, 0, v16, vcc
	v_cmp_eq_u32_e32 vcc, 0, v10
	v_or_b32_e32 v22, 0x800000, v40
	v_cndmask_b32_e32 v16, v16, v55, vcc
	v_add_u32_e32 v11, 0xffffff81, v10
	v_cndmask_b32_e32 v40, v22, v40, vcc
	v_add_u32_e32 v10, 21, v16
	v_cndmask_b32_e32 v23, v11, v54, vcc
	v_lshlrev_b64 v[10:11], v10, -1
	v_add_u32_e32 v22, 20, v16
	v_lshrrev_b64 v[50:51], v16, v[40:41]
	v_not_b32_e32 v11, v11
	v_not_b32_e32 v10, v10
	v_lshlrev_b64 v[36:37], v22, 1
	v_lshrrev_b32_e32 v22, 23, v50
	v_and_b32_e32 v11, 0, v11
	v_and_b32_e32 v10, v40, v10
	v_add3_u32 v23, v16, v23, v22
	v_bfe_u32 v16, v50, 21, 1
	v_add_u32_e32 v16, -1, v16
	v_cmp_eq_u64_e32 vcc, v[10:11], v[36:37]
	v_cndmask_b32_e32 v10, 0, v16, vcc
	v_add_u32_e32 v10, v10, v50
	v_and_b32_e32 v10, 0x1fffff, v10
	v_add_co_u32_e32 v10, vcc, v10, v50
	v_add_u32_e32 v22, 14, v23
	v_addc_co_u32_e32 v11, vcc, 0, v51, vcc
	v_cmp_ne_u32_e32 vcc, 0, v22
                                        ; implicit-def: $vgpr16
	s_and_saveexec_b64 s[18:19], vcc
	s_xor_b64 s[18:19], exec, s[18:19]
; %bb.234:                              ;   in Loop: Header=BB4_114 Depth=3
	v_add_u32_e32 v16, 15, v23
	v_cmp_lt_u64_e32 vcc, s[42:43], v[10:11]
	v_cndmask_b32_e32 v16, v22, v16, vcc
	v_cndmask_b32_e64 v22, 0, 1, vcc
	v_lshrrev_b64 v[10:11], v22, v[10:11]
; %bb.235:                              ;   in Loop: Header=BB4_114 Depth=3
	s_andn2_saveexec_b64 s[18:19], s[18:19]
; %bb.236:                              ;   in Loop: Header=BB4_114 Depth=3
	v_bfe_u32 v16, v10, 23, 1
; %bb.237:                              ;   in Loop: Header=BB4_114 Depth=3
	s_or_b64 exec, exec, s[18:19]
	v_lshrrev_b64 v[10:11], 21, v[10:11]
	v_cmp_gt_i32_e32 vcc, 32, v16
	v_cndmask_b32_e32 v11, 0, v11, vcc
	v_cndmask_b32_e32 v10, 3, v10, vcc
	v_cmp_eq_u64_e64 s[18:19], 0, v[10:11]
	v_min_i32_e32 v11, 31, v16
	v_cmp_eq_u32_e32 vcc, 0, v16
	v_lshlrev_b32_e32 v11, 2, v11
	v_and_or_b32 v10, v10, 3, v11
	s_and_b64 s[18:19], vcc, s[18:19]
	v_cndmask_b32_e64 v10, v10, 0, s[18:19]
	v_or_b32_e32 v16, v10, v2
.LBB4_238:                              ;   in Loop: Header=BB4_114 Depth=3
	s_or_b64 exec, exec, s[52:53]
.LBB4_239:                              ;   in Loop: Header=BB4_114 Depth=3
	s_or_b64 exec, exec, s[50:51]
                                        ; implicit-def: $vgpr10
.LBB4_240:                              ;   in Loop: Header=BB4_114 Depth=3
	s_andn2_saveexec_b64 s[18:19], s[48:49]
; %bb.241:                              ;   in Loop: Header=BB4_114 Depth=3
	v_or_b32_sdwa v2, v10, s68 dst_sel:DWORD dst_unused:UNUSED_PAD src0_sel:BYTE_3 src1_sel:DWORD
	v_cmp_eq_u64_e32 vcc, 0, v[40:41]
	v_cndmask_b32_e32 v16, v2, v16, vcc
; %bb.242:                              ;   in Loop: Header=BB4_114 Depth=3
	s_or_b64 exec, exec, s[18:19]
	v_cmp_ne_u16_sdwa vcc, v18, v41 src0_sel:BYTE_0 src1_sel:DWORD
	v_mov_b32_e32 v2, 0
	v_mov_b32_e32 v10, 0
	s_and_saveexec_b64 s[18:19], vcc
	s_cbranch_execz .LBB4_250
; %bb.243:                              ;   in Loop: Header=BB4_114 Depth=3
	v_cmp_ne_u16_sdwa vcc, sext(v18), s63 src0_sel:BYTE_0 src1_sel:DWORD
	v_bfrev_b32_e32 v10, 1
	s_and_saveexec_b64 s[48:49], vcc
	s_cbranch_execz .LBB4_249
; %bb.244:                              ;   in Loop: Header=BB4_114 Depth=3
	v_and_b32_e32 v10, 0x7c, v18
	v_and_b32_e32 v11, 3, v18
	v_cmp_ne_u32_e32 vcc, s64, v10
                                        ; implicit-def: $vgpr10
	s_and_saveexec_b64 s[50:51], vcc
	s_xor_b64 s[50:51], exec, s[50:51]
	s_cbranch_execz .LBB4_246
; %bb.245:                              ;   in Loop: Header=BB4_114 Depth=3
	v_ffbh_u32_e32 v22, v11
	v_min_u32_e32 v36, 32, v22
	v_bfe_u32 v10, v18, 2, 5
	v_subrev_u32_e32 v22, 29, v36
	v_lshlrev_b64 v[22:23], v22, v[18:19]
	v_sub_u32_e32 v19, 30, v36
	v_cmp_eq_u32_e32 vcc, 0, v10
	v_cndmask_b32_e32 v10, v10, v19, vcc
	v_and_b32_e32 v22, 3, v22
	v_lshlrev_b32_e32 v19, 24, v18
	v_lshl_add_u32 v10, v10, 23, v25
	v_cndmask_b32_e32 v11, v11, v22, vcc
	v_and_or_b32 v10, v19, s65, v10
	v_lshl_or_b32 v10, v11, 21, v10
                                        ; implicit-def: $vgpr11
.LBB4_246:                              ;   in Loop: Header=BB4_114 Depth=3
	s_andn2_saveexec_b64 s[50:51], s[50:51]
; %bb.247:                              ;   in Loop: Header=BB4_114 Depth=3
	v_cmp_gt_i16_sdwa vcc, sext(v18), v30 src0_sel:BYTE_0 src1_sel:DWORD
	v_cndmask_b32_e32 v10, v47, v6, vcc
	v_cmp_eq_u32_e32 vcc, 0, v11
	v_cndmask_b32_e32 v10, v7, v10, vcc
; %bb.248:                              ;   in Loop: Header=BB4_114 Depth=3
	s_or_b64 exec, exec, s[50:51]
.LBB4_249:                              ;   in Loop: Header=BB4_114 Depth=3
	s_or_b64 exec, exec, s[48:49]
.LBB4_250:                              ;   in Loop: Header=BB4_114 Depth=3
	s_or_b64 exec, exec, s[18:19]
	v_alignbit_b32 v40, v62, v26, v27
	v_cmp_ne_u16_sdwa vcc, v40, v41 src0_sel:BYTE_0 src1_sel:DWORD
	s_and_saveexec_b64 s[18:19], vcc
	s_cbranch_execz .LBB4_258
; %bb.251:                              ;   in Loop: Header=BB4_114 Depth=3
	v_cmp_ne_u16_sdwa vcc, sext(v40), s63 src0_sel:BYTE_0 src1_sel:DWORD
	v_bfrev_b32_e32 v2, 1
	s_and_saveexec_b64 s[48:49], vcc
	s_cbranch_execz .LBB4_257
; %bb.252:                              ;   in Loop: Header=BB4_114 Depth=3
	v_and_b32_e32 v2, 0x7c, v40
	v_and_b32_e32 v11, 3, v40
	v_cmp_ne_u32_e32 vcc, s64, v2
                                        ; implicit-def: $vgpr2
	s_and_saveexec_b64 s[50:51], vcc
	s_xor_b64 s[50:51], exec, s[50:51]
	s_cbranch_execz .LBB4_254
; %bb.253:                              ;   in Loop: Header=BB4_114 Depth=3
	v_ffbh_u32_e32 v19, v11
	v_bfe_u32 v2, v40, 2, 5
	v_min_u32_e32 v19, 32, v19
	v_subrev_u32_e32 v22, 29, v19
	v_sub_u32_e32 v19, 30, v19
	v_cmp_eq_u32_e32 vcc, 0, v2
	v_lshlrev_b64 v[22:23], v22, v[40:41]
	v_cndmask_b32_e32 v2, v2, v19, vcc
	v_and_b32_e32 v22, 3, v22
	v_lshlrev_b32_e32 v19, 24, v40
	v_lshl_add_u32 v2, v2, 23, v25
	v_cndmask_b32_e32 v11, v11, v22, vcc
	v_and_or_b32 v2, v19, s65, v2
	v_lshl_or_b32 v2, v11, 21, v2
                                        ; implicit-def: $vgpr11
.LBB4_254:                              ;   in Loop: Header=BB4_114 Depth=3
	s_andn2_saveexec_b64 s[50:51], s[50:51]
; %bb.255:                              ;   in Loop: Header=BB4_114 Depth=3
	v_cmp_gt_i16_sdwa vcc, sext(v40), v30 src0_sel:BYTE_0 src1_sel:DWORD
	v_cndmask_b32_e32 v2, v47, v6, vcc
	v_cmp_eq_u32_e32 vcc, 0, v11
	v_cndmask_b32_e32 v2, v7, v2, vcc
; %bb.256:                              ;   in Loop: Header=BB4_114 Depth=3
	s_or_b64 exec, exec, s[50:51]
.LBB4_257:                              ;   in Loop: Header=BB4_114 Depth=3
	s_or_b64 exec, exec, s[48:49]
.LBB4_258:                              ;   in Loop: Header=BB4_114 Depth=3
	s_or_b64 exec, exec, s[18:19]
	v_mul_f32_e32 v26, v10, v2
	v_and_b32_sdwa v2, v26, s66 dst_sel:DWORD dst_unused:UNUSED_PAD src0_sel:BYTE_3 src1_sel:DWORD
	v_and_b32_e32 v22, 0x7f800000, v26
	v_mov_b32_e32 v23, v41
	v_and_b32_e32 v10, 0x7fffff, v26
	v_mov_b32_e32 v11, v41
	v_or_b32_e32 v19, 0x7b, v2
	v_cmp_ne_u64_e32 vcc, s[38:39], v[22:23]
	s_and_saveexec_b64 s[18:19], vcc
	s_xor_b64 s[48:49], exec, s[18:19]
	s_cbranch_execz .LBB4_268
; %bb.259:                              ;   in Loop: Header=BB4_114 Depth=3
	v_and_b32_e32 v22, 0x7fffffff, v26
	v_mov_b32_e32 v23, v41
	v_cmp_gt_u64_e32 vcc, s[40:41], v[22:23]
	s_and_saveexec_b64 s[50:51], vcc
	s_cbranch_execz .LBB4_267
; %bb.260:                              ;   in Loop: Header=BB4_114 Depth=3
	v_cmp_ne_u32_e32 vcc, 0, v26
	v_mov_b32_e32 v19, 0
	s_and_saveexec_b64 s[52:53], vcc
	s_cbranch_execz .LBB4_266
; %bb.261:                              ;   in Loop: Header=BB4_114 Depth=3
	v_bfe_u32 v19, v26, 23, 8
	v_sub_u32_e32 v23, 0x71, v19
	v_cmp_gt_u32_e32 vcc, s67, v19
	v_cndmask_b32_e32 v23, 0, v23, vcc
	v_cmp_eq_u32_e32 vcc, 0, v19
	v_add_u32_e32 v22, 0xffffff81, v19
	v_cndmask_b32_e32 v50, v23, v55, vcc
	v_cndmask_b32_e32 v19, v22, v54, vcc
	v_add_u32_e32 v22, 21, v50
	v_or_b32_e32 v26, 0x800000, v10
	v_lshlrev_b64 v[22:23], v22, -1
	v_cndmask_b32_e32 v10, v26, v10, vcc
	v_not_b32_e32 v22, v22
	v_and_b32_e32 v26, v10, v22
	v_add_u32_e32 v22, 20, v50
	v_lshrrev_b64 v[10:11], v50, v[10:11]
	v_not_b32_e32 v23, v23
	v_lshlrev_b64 v[36:37], v22, 1
	v_lshrrev_b32_e32 v22, 23, v10
	v_and_b32_e32 v27, 0, v23
	v_add3_u32 v23, v50, v19, v22
	v_bfe_u32 v19, v10, 21, 1
	v_add_u32_e32 v19, -1, v19
	v_cmp_eq_u64_e32 vcc, v[26:27], v[36:37]
	v_cndmask_b32_e32 v19, 0, v19, vcc
	v_add_u32_e32 v19, v19, v10
	v_and_b32_e32 v19, 0x1fffff, v19
	v_add_co_u32_e32 v10, vcc, v19, v10
	v_add_u32_e32 v22, 14, v23
	v_addc_co_u32_e32 v11, vcc, 0, v11, vcc
	v_cmp_ne_u32_e32 vcc, 0, v22
                                        ; implicit-def: $vgpr19
	s_and_saveexec_b64 s[18:19], vcc
	s_xor_b64 s[18:19], exec, s[18:19]
; %bb.262:                              ;   in Loop: Header=BB4_114 Depth=3
	v_add_u32_e32 v19, 15, v23
	v_cmp_lt_u64_e32 vcc, s[42:43], v[10:11]
	v_cndmask_b32_e32 v19, v22, v19, vcc
	v_cndmask_b32_e64 v22, 0, 1, vcc
	v_lshrrev_b64 v[10:11], v22, v[10:11]
; %bb.263:                              ;   in Loop: Header=BB4_114 Depth=3
	s_andn2_saveexec_b64 s[18:19], s[18:19]
; %bb.264:                              ;   in Loop: Header=BB4_114 Depth=3
	v_bfe_u32 v19, v10, 23, 1
; %bb.265:                              ;   in Loop: Header=BB4_114 Depth=3
	s_or_b64 exec, exec, s[18:19]
	v_lshrrev_b64 v[10:11], 21, v[10:11]
	v_cmp_gt_i32_e32 vcc, 32, v19
	v_cndmask_b32_e32 v11, 0, v11, vcc
	v_cndmask_b32_e32 v10, 3, v10, vcc
	v_cmp_eq_u64_e64 s[18:19], 0, v[10:11]
	v_min_i32_e32 v11, 31, v19
	v_cmp_eq_u32_e32 vcc, 0, v19
	v_lshlrev_b32_e32 v11, 2, v11
	v_and_or_b32 v10, v10, 3, v11
	s_and_b64 s[18:19], vcc, s[18:19]
	v_cndmask_b32_e64 v10, v10, 0, s[18:19]
	v_or_b32_e32 v19, v10, v2
.LBB4_266:                              ;   in Loop: Header=BB4_114 Depth=3
	s_or_b64 exec, exec, s[52:53]
.LBB4_267:                              ;   in Loop: Header=BB4_114 Depth=3
	s_or_b64 exec, exec, s[50:51]
                                        ; implicit-def: $vgpr26
                                        ; implicit-def: $vgpr10_vgpr11
.LBB4_268:                              ;   in Loop: Header=BB4_114 Depth=3
	s_andn2_saveexec_b64 s[18:19], s[48:49]
; %bb.269:                              ;   in Loop: Header=BB4_114 Depth=3
	v_or_b32_sdwa v2, v26, s68 dst_sel:DWORD dst_unused:UNUSED_PAD src0_sel:BYTE_3 src1_sel:DWORD
	v_cmp_eq_u64_e32 vcc, 0, v[10:11]
	v_cndmask_b32_e32 v19, v2, v19, vcc
; %bb.270:                              ;   in Loop: Header=BB4_114 Depth=3
	s_or_b64 exec, exec, s[18:19]
	v_lshrrev_b16_e32 v10, 8, v18
	v_cmp_ne_u16_e32 vcc, 0, v10
	v_mov_b32_e32 v2, 0
	v_mov_b32_e32 v26, 0
	s_and_saveexec_b64 s[18:19], vcc
	s_cbranch_execz .LBB4_278
; %bb.271:                              ;   in Loop: Header=BB4_114 Depth=3
	v_cmp_ne_u16_e32 vcc, s66, v10
	v_bfrev_b32_e32 v26, 1
	s_and_saveexec_b64 s[48:49], vcc
	s_cbranch_execz .LBB4_277
; %bb.272:                              ;   in Loop: Header=BB4_114 Depth=3
	v_and_b32_e32 v11, 0x7c, v10
	v_and_b32_e32 v22, 3, v10
	v_cmp_ne_u32_e32 vcc, s64, v11
                                        ; implicit-def: $vgpr26
	s_and_saveexec_b64 s[50:51], vcc
	s_xor_b64 s[50:51], exec, s[50:51]
	s_cbranch_execz .LBB4_274
; %bb.273:                              ;   in Loop: Header=BB4_114 Depth=3
	v_ffbh_u32_e32 v26, v22
	v_min_u32_e32 v26, 32, v26
	v_mov_b32_e32 v11, v41
	v_subrev_u32_e32 v27, 29, v26
	v_bfe_u32 v23, v10, 2, 5
	v_lshlrev_b64 v[10:11], v27, v[10:11]
	v_sub_u32_e32 v11, 30, v26
	v_cmp_eq_u32_e32 vcc, 0, v23
	v_and_b32_e32 v10, 3, v10
	v_cndmask_b32_e32 v11, v23, v11, vcc
	v_cndmask_b32_e32 v10, v22, v10, vcc
	v_lshlrev_b32_e32 v22, 16, v18
	v_lshl_add_u32 v11, v11, 23, v25
	v_and_or_b32 v11, v22, s65, v11
	v_lshl_or_b32 v26, v10, 21, v11
                                        ; implicit-def: $vgpr22
.LBB4_274:                              ;   in Loop: Header=BB4_114 Depth=3
	s_andn2_saveexec_b64 s[50:51], s[50:51]
; %bb.275:                              ;   in Loop: Header=BB4_114 Depth=3
	v_cmp_lt_i16_e32 vcc, -1, v18
	v_cndmask_b32_e32 v10, v47, v6, vcc
	v_cmp_eq_u32_e32 vcc, 0, v22
	v_cndmask_b32_e32 v26, v7, v10, vcc
; %bb.276:                              ;   in Loop: Header=BB4_114 Depth=3
	s_or_b64 exec, exec, s[50:51]
.LBB4_277:                              ;   in Loop: Header=BB4_114 Depth=3
	s_or_b64 exec, exec, s[48:49]
.LBB4_278:                              ;   in Loop: Header=BB4_114 Depth=3
	s_or_b64 exec, exec, s[18:19]
	v_lshrrev_b16_e32 v10, 8, v40
	v_cmp_ne_u16_e32 vcc, 0, v10
	s_and_saveexec_b64 s[18:19], vcc
	s_cbranch_execz .LBB4_286
; %bb.279:                              ;   in Loop: Header=BB4_114 Depth=3
	v_cmp_ne_u16_e32 vcc, s66, v10
	v_bfrev_b32_e32 v2, 1
	s_and_saveexec_b64 s[48:49], vcc
	s_cbranch_execz .LBB4_285
; %bb.280:                              ;   in Loop: Header=BB4_114 Depth=3
	v_and_b32_e32 v2, 0x7c, v10
	v_and_b32_e32 v22, 3, v10
	v_cmp_ne_u32_e32 vcc, s64, v2
                                        ; implicit-def: $vgpr2
	s_and_saveexec_b64 s[50:51], vcc
	s_xor_b64 s[50:51], exec, s[50:51]
	s_cbranch_execz .LBB4_282
; %bb.281:                              ;   in Loop: Header=BB4_114 Depth=3
	v_ffbh_u32_e32 v23, v22
	v_min_u32_e32 v23, 32, v23
	v_mov_b32_e32 v11, v41
	v_subrev_u32_e32 v27, 29, v23
	v_bfe_u32 v2, v10, 2, 5
	v_lshlrev_b64 v[10:11], v27, v[10:11]
	v_sub_u32_e32 v11, 30, v23
	v_cmp_eq_u32_e32 vcc, 0, v2
	v_cndmask_b32_e32 v2, v2, v11, vcc
	v_and_b32_e32 v10, 3, v10
	v_lshlrev_b32_e32 v11, 16, v40
	v_lshl_add_u32 v2, v2, 23, v25
	v_cndmask_b32_e32 v10, v22, v10, vcc
	v_and_or_b32 v2, v11, s65, v2
	v_lshl_or_b32 v2, v10, 21, v2
                                        ; implicit-def: $vgpr22
.LBB4_282:                              ;   in Loop: Header=BB4_114 Depth=3
	s_andn2_saveexec_b64 s[50:51], s[50:51]
; %bb.283:                              ;   in Loop: Header=BB4_114 Depth=3
	v_cmp_lt_i16_e32 vcc, -1, v40
	v_cndmask_b32_e32 v2, v47, v6, vcc
	v_cmp_eq_u32_e32 vcc, 0, v22
	v_cndmask_b32_e32 v2, v7, v2, vcc
; %bb.284:                              ;   in Loop: Header=BB4_114 Depth=3
	s_or_b64 exec, exec, s[50:51]
.LBB4_285:                              ;   in Loop: Header=BB4_114 Depth=3
	s_or_b64 exec, exec, s[48:49]
.LBB4_286:                              ;   in Loop: Header=BB4_114 Depth=3
	s_or_b64 exec, exec, s[18:19]
	v_mul_f32_e32 v27, v26, v2
	v_and_b32_sdwa v2, v27, s66 dst_sel:DWORD dst_unused:UNUSED_PAD src0_sel:BYTE_3 src1_sel:DWORD
	v_and_b32_e32 v22, 0x7f800000, v27
	v_mov_b32_e32 v23, v41
	v_and_b32_e32 v10, 0x7fffff, v27
	v_mov_b32_e32 v11, v41
	v_or_b32_e32 v26, 0x7b, v2
	v_cmp_ne_u64_e32 vcc, s[38:39], v[22:23]
	s_and_saveexec_b64 s[18:19], vcc
	s_xor_b64 s[48:49], exec, s[18:19]
	s_cbranch_execz .LBB4_296
; %bb.287:                              ;   in Loop: Header=BB4_114 Depth=3
	v_and_b32_e32 v22, 0x7fffffff, v27
	v_mov_b32_e32 v23, v41
	v_cmp_gt_u64_e32 vcc, s[40:41], v[22:23]
	s_and_saveexec_b64 s[50:51], vcc
	s_cbranch_execz .LBB4_295
; %bb.288:                              ;   in Loop: Header=BB4_114 Depth=3
	v_cmp_ne_u32_e32 vcc, 0, v27
	v_mov_b32_e32 v26, 0
	s_and_saveexec_b64 s[52:53], vcc
	s_cbranch_execz .LBB4_294
; %bb.289:                              ;   in Loop: Header=BB4_114 Depth=3
	v_bfe_u32 v22, v27, 23, 8
	v_sub_u32_e32 v26, 0x71, v22
	v_cmp_gt_u32_e32 vcc, s67, v22
	v_cndmask_b32_e32 v26, 0, v26, vcc
	v_cmp_eq_u32_e32 vcc, 0, v22
	v_cndmask_b32_e32 v51, v26, v55, vcc
	v_add_u32_e32 v23, 0xffffff81, v22
	v_add_u32_e32 v22, 21, v51
	v_or_b32_e32 v27, 0x800000, v10
	v_cndmask_b32_e32 v50, v23, v54, vcc
	v_lshlrev_b64 v[22:23], v22, -1
	v_cndmask_b32_e32 v10, v27, v10, vcc
	v_not_b32_e32 v22, v22
	v_and_b32_e32 v26, v10, v22
	v_add_u32_e32 v22, 20, v51
	v_lshrrev_b64 v[10:11], v51, v[10:11]
	v_not_b32_e32 v23, v23
	v_lshlrev_b64 v[36:37], v22, 1
	v_lshrrev_b32_e32 v22, 23, v10
	v_and_b32_e32 v27, 0, v23
	v_add3_u32 v23, v51, v50, v22
	v_bfe_u32 v50, v10, 21, 1
	v_add_u32_e32 v50, -1, v50
	v_cmp_eq_u64_e32 vcc, v[26:27], v[36:37]
	v_cndmask_b32_e32 v26, 0, v50, vcc
	v_add_u32_e32 v26, v26, v10
	v_and_b32_e32 v26, 0x1fffff, v26
	v_add_co_u32_e32 v10, vcc, v26, v10
	v_add_u32_e32 v22, 14, v23
	v_addc_co_u32_e32 v11, vcc, 0, v11, vcc
	v_cmp_ne_u32_e32 vcc, 0, v22
                                        ; implicit-def: $vgpr26
	s_and_saveexec_b64 s[18:19], vcc
	s_xor_b64 s[18:19], exec, s[18:19]
; %bb.290:                              ;   in Loop: Header=BB4_114 Depth=3
	v_add_u32_e32 v23, 15, v23
	v_cmp_lt_u64_e32 vcc, s[42:43], v[10:11]
	v_cndmask_b32_e32 v26, v22, v23, vcc
	v_cndmask_b32_e64 v22, 0, 1, vcc
	v_lshrrev_b64 v[10:11], v22, v[10:11]
; %bb.291:                              ;   in Loop: Header=BB4_114 Depth=3
	s_andn2_saveexec_b64 s[18:19], s[18:19]
; %bb.292:                              ;   in Loop: Header=BB4_114 Depth=3
	v_bfe_u32 v26, v10, 23, 1
; %bb.293:                              ;   in Loop: Header=BB4_114 Depth=3
	s_or_b64 exec, exec, s[18:19]
	v_lshrrev_b64 v[10:11], 21, v[10:11]
	v_cmp_gt_i32_e32 vcc, 32, v26
	v_cndmask_b32_e32 v11, 0, v11, vcc
	v_cndmask_b32_e32 v10, 3, v10, vcc
	v_cmp_eq_u64_e64 s[18:19], 0, v[10:11]
	v_min_i32_e32 v11, 31, v26
	v_cmp_eq_u32_e32 vcc, 0, v26
	v_lshlrev_b32_e32 v11, 2, v11
	v_and_or_b32 v10, v10, 3, v11
	s_and_b64 s[18:19], vcc, s[18:19]
	v_cndmask_b32_e64 v10, v10, 0, s[18:19]
	v_or_b32_e32 v26, v10, v2
.LBB4_294:                              ;   in Loop: Header=BB4_114 Depth=3
	s_or_b64 exec, exec, s[52:53]
.LBB4_295:                              ;   in Loop: Header=BB4_114 Depth=3
	s_or_b64 exec, exec, s[50:51]
                                        ; implicit-def: $vgpr27
                                        ; implicit-def: $vgpr10_vgpr11
.LBB4_296:                              ;   in Loop: Header=BB4_114 Depth=3
	s_andn2_saveexec_b64 s[18:19], s[48:49]
; %bb.297:                              ;   in Loop: Header=BB4_114 Depth=3
	v_or_b32_sdwa v2, v27, s68 dst_sel:DWORD dst_unused:UNUSED_PAD src0_sel:BYTE_3 src1_sel:DWORD
	v_cmp_eq_u64_e32 vcc, 0, v[10:11]
	v_cndmask_b32_e32 v26, v2, v26, vcc
; %bb.298:                              ;   in Loop: Header=BB4_114 Depth=3
	s_or_b64 exec, exec, s[18:19]
	v_lshrrev_b32_e32 v2, 16, v18
	v_cmp_ne_u16_sdwa vcc, v2, v41 src0_sel:BYTE_0 src1_sel:DWORD
	v_mov_b32_e32 v10, 0
	v_mov_b32_e32 v11, 0
	s_and_saveexec_b64 s[18:19], vcc
	s_cbranch_execz .LBB4_306
; %bb.299:                              ;   in Loop: Header=BB4_114 Depth=3
	v_cmp_ne_u16_sdwa vcc, v2, s66 src0_sel:BYTE_0 src1_sel:DWORD
	v_bfrev_b32_e32 v11, 1
	s_and_saveexec_b64 s[48:49], vcc
	s_cbranch_execz .LBB4_305
; %bb.300:                              ;   in Loop: Header=BB4_114 Depth=3
	v_and_b32_e32 v11, 0x7c0000, v18
	v_bfe_u32 v27, v18, 16, 2
	v_cmp_ne_u32_e32 vcc, s69, v11
                                        ; implicit-def: $vgpr11
	s_and_saveexec_b64 s[50:51], vcc
	s_xor_b64 s[50:51], exec, s[50:51]
	s_cbranch_execz .LBB4_302
; %bb.301:                              ;   in Loop: Header=BB4_114 Depth=3
	v_ffbh_u32_e32 v22, v27
	v_min_u32_e32 v36, 32, v22
	v_bfe_u32 v11, v18, 18, 5
	v_subrev_u32_e32 v22, 29, v36
	v_lshlrev_b64 v[22:23], v22, v[2:3]
	v_sub_u32_e32 v2, 30, v36
	v_cmp_eq_u32_e32 vcc, 0, v11
	v_and_b32_e32 v22, 3, v22
	v_cndmask_b32_e32 v2, v11, v2, vcc
	v_cndmask_b32_e32 v11, v27, v22, vcc
	v_lshlrev_b32_e32 v22, 8, v18
	v_lshl_add_u32 v2, v2, 23, v25
	v_and_or_b32 v2, v22, s65, v2
	v_lshl_or_b32 v11, v11, 21, v2
                                        ; implicit-def: $vgpr27
                                        ; implicit-def: $vgpr2
.LBB4_302:                              ;   in Loop: Header=BB4_114 Depth=3
	s_andn2_saveexec_b64 s[50:51], s[50:51]
; %bb.303:                              ;   in Loop: Header=BB4_114 Depth=3
	v_cmp_gt_i16_sdwa vcc, sext(v2), v30 src0_sel:BYTE_0 src1_sel:DWORD
	v_cndmask_b32_e32 v2, v47, v6, vcc
	v_cmp_eq_u32_e32 vcc, 0, v27
	v_cndmask_b32_e32 v11, v7, v2, vcc
; %bb.304:                              ;   in Loop: Header=BB4_114 Depth=3
	s_or_b64 exec, exec, s[50:51]
.LBB4_305:                              ;   in Loop: Header=BB4_114 Depth=3
	s_or_b64 exec, exec, s[48:49]
.LBB4_306:                              ;   in Loop: Header=BB4_114 Depth=3
	s_or_b64 exec, exec, s[18:19]
	v_and_b32_sdwa v22, v40, s62 dst_sel:DWORD dst_unused:UNUSED_PAD src0_sel:WORD_1 src1_sel:DWORD
	v_lshrrev_b32_e32 v2, 16, v40
	v_cmp_ne_u16_e32 vcc, 0, v22
	s_and_saveexec_b64 s[18:19], vcc
	s_cbranch_execz .LBB4_314
; %bb.307:                              ;   in Loop: Header=BB4_114 Depth=3
	v_cmp_ne_u16_e32 vcc, s66, v22
	v_bfrev_b32_e32 v10, 1
	s_and_saveexec_b64 s[48:49], vcc
	s_cbranch_execz .LBB4_313
; %bb.308:                              ;   in Loop: Header=BB4_114 Depth=3
	v_and_b32_e32 v10, 0x7c0000, v40
	v_bfe_u32 v27, v40, 16, 2
	v_cmp_ne_u32_e32 vcc, s69, v10
                                        ; implicit-def: $vgpr10
	s_and_saveexec_b64 s[50:51], vcc
	s_xor_b64 s[50:51], exec, s[50:51]
	s_cbranch_execz .LBB4_310
; %bb.309:                              ;   in Loop: Header=BB4_114 Depth=3
	v_ffbh_u32_e32 v22, v27
	v_min_u32_e32 v36, 32, v22
	v_bfe_u32 v10, v40, 18, 5
	v_subrev_u32_e32 v22, 29, v36
	v_lshlrev_b64 v[22:23], v22, v[2:3]
	v_sub_u32_e32 v2, 30, v36
	v_cmp_eq_u32_e32 vcc, 0, v10
	v_and_b32_e32 v22, 3, v22
	v_cndmask_b32_e32 v2, v10, v2, vcc
	v_cndmask_b32_e32 v10, v27, v22, vcc
	v_lshlrev_b32_e32 v22, 8, v40
	v_lshl_add_u32 v2, v2, 23, v25
	v_and_or_b32 v2, v22, s65, v2
	v_lshl_or_b32 v10, v10, 21, v2
                                        ; implicit-def: $vgpr27
                                        ; implicit-def: $vgpr2
.LBB4_310:                              ;   in Loop: Header=BB4_114 Depth=3
	s_andn2_saveexec_b64 s[50:51], s[50:51]
; %bb.311:                              ;   in Loop: Header=BB4_114 Depth=3
	v_cmp_gt_i16_sdwa vcc, sext(v2), v30 src0_sel:BYTE_0 src1_sel:DWORD
	v_cndmask_b32_e32 v2, v47, v6, vcc
	v_cmp_eq_u32_e32 vcc, 0, v27
	v_cndmask_b32_e32 v10, v7, v2, vcc
; %bb.312:                              ;   in Loop: Header=BB4_114 Depth=3
	s_or_b64 exec, exec, s[50:51]
.LBB4_313:                              ;   in Loop: Header=BB4_114 Depth=3
	s_or_b64 exec, exec, s[48:49]
.LBB4_314:                              ;   in Loop: Header=BB4_114 Depth=3
	s_or_b64 exec, exec, s[18:19]
	v_mul_f32_e32 v46, v11, v10
	v_and_b32_sdwa v2, v46, s66 dst_sel:DWORD dst_unused:UNUSED_PAD src0_sel:BYTE_3 src1_sel:DWORD
	v_and_b32_e32 v22, 0x7f800000, v46
	v_mov_b32_e32 v23, v41
	v_and_b32_e32 v10, 0x7fffff, v46
	v_mov_b32_e32 v11, v41
	v_or_b32_e32 v27, 0x7b, v2
	v_cmp_ne_u64_e32 vcc, s[38:39], v[22:23]
	s_and_saveexec_b64 s[18:19], vcc
	s_xor_b64 s[48:49], exec, s[18:19]
	s_cbranch_execz .LBB4_324
; %bb.315:                              ;   in Loop: Header=BB4_114 Depth=3
	v_and_b32_e32 v22, 0x7fffffff, v46
	v_mov_b32_e32 v23, v41
	v_cmp_gt_u64_e32 vcc, s[40:41], v[22:23]
	s_and_saveexec_b64 s[50:51], vcc
	s_cbranch_execz .LBB4_323
; %bb.316:                              ;   in Loop: Header=BB4_114 Depth=3
	v_cmp_ne_u32_e32 vcc, 0, v46
	v_mov_b32_e32 v27, 0
	s_and_saveexec_b64 s[52:53], vcc
	s_cbranch_execz .LBB4_322
; %bb.317:                              ;   in Loop: Header=BB4_114 Depth=3
	v_bfe_u32 v22, v46, 23, 8
	v_sub_u32_e32 v27, 0x71, v22
	v_cmp_gt_u32_e32 vcc, s67, v22
	v_cndmask_b32_e32 v27, 0, v27, vcc
	v_cmp_eq_u32_e32 vcc, 0, v22
	v_cndmask_b32_e32 v27, v27, v55, vcc
	v_add_u32_e32 v23, 0xffffff81, v22
	v_add_u32_e32 v22, 21, v27
	v_or_b32_e32 v36, 0x800000, v10
	v_cndmask_b32_e32 v46, v23, v54, vcc
	v_lshlrev_b64 v[22:23], v22, -1
	v_cndmask_b32_e32 v10, v36, v10, vcc
	v_not_b32_e32 v22, v22
	v_and_b32_e32 v36, v10, v22
	v_add_u32_e32 v22, 20, v27
	v_lshrrev_b64 v[10:11], v27, v[10:11]
	v_not_b32_e32 v23, v23
	v_lshlrev_b64 v[50:51], v22, 1
	v_lshrrev_b32_e32 v22, 23, v10
	v_and_b32_e32 v37, 0, v23
	v_add3_u32 v23, v27, v46, v22
	v_bfe_u32 v27, v10, 21, 1
	v_add_u32_e32 v27, -1, v27
	v_cmp_eq_u64_e32 vcc, v[36:37], v[50:51]
	v_cndmask_b32_e32 v27, 0, v27, vcc
	v_add_u32_e32 v27, v27, v10
	v_and_b32_e32 v27, 0x1fffff, v27
	v_add_co_u32_e32 v10, vcc, v27, v10
	v_add_u32_e32 v22, 14, v23
	v_addc_co_u32_e32 v11, vcc, 0, v11, vcc
	v_cmp_ne_u32_e32 vcc, 0, v22
                                        ; implicit-def: $vgpr27
	s_and_saveexec_b64 s[18:19], vcc
	s_xor_b64 s[18:19], exec, s[18:19]
; %bb.318:                              ;   in Loop: Header=BB4_114 Depth=3
	v_add_u32_e32 v23, 15, v23
	v_cmp_lt_u64_e32 vcc, s[42:43], v[10:11]
	v_cndmask_b32_e32 v27, v22, v23, vcc
	v_cndmask_b32_e64 v22, 0, 1, vcc
	v_lshrrev_b64 v[10:11], v22, v[10:11]
; %bb.319:                              ;   in Loop: Header=BB4_114 Depth=3
	s_andn2_saveexec_b64 s[18:19], s[18:19]
; %bb.320:                              ;   in Loop: Header=BB4_114 Depth=3
	v_bfe_u32 v27, v10, 23, 1
; %bb.321:                              ;   in Loop: Header=BB4_114 Depth=3
	s_or_b64 exec, exec, s[18:19]
	v_lshrrev_b64 v[10:11], 21, v[10:11]
	v_cmp_gt_i32_e32 vcc, 32, v27
	v_cndmask_b32_e32 v11, 0, v11, vcc
	v_cndmask_b32_e32 v10, 3, v10, vcc
	v_cmp_eq_u64_e64 s[18:19], 0, v[10:11]
	v_min_i32_e32 v11, 31, v27
	v_lshlrev_b32_e32 v11, 2, v11
	v_cmp_eq_u32_e32 vcc, 0, v27
	v_and_b32_e32 v11, 0xfc, v11
	v_and_or_b32 v10, v10, 3, v11
	s_and_b64 s[18:19], vcc, s[18:19]
	v_cndmask_b32_e64 v10, v10, 0, s[18:19]
	v_or_b32_e32 v27, v10, v2
.LBB4_322:                              ;   in Loop: Header=BB4_114 Depth=3
	s_or_b64 exec, exec, s[52:53]
.LBB4_323:                              ;   in Loop: Header=BB4_114 Depth=3
	s_or_b64 exec, exec, s[50:51]
                                        ; implicit-def: $vgpr46
                                        ; implicit-def: $vgpr10_vgpr11
.LBB4_324:                              ;   in Loop: Header=BB4_114 Depth=3
	s_andn2_saveexec_b64 s[18:19], s[48:49]
; %bb.325:                              ;   in Loop: Header=BB4_114 Depth=3
	v_or_b32_sdwa v2, v46, s68 dst_sel:DWORD dst_unused:UNUSED_PAD src0_sel:BYTE_3 src1_sel:DWORD
	v_cmp_eq_u64_e32 vcc, 0, v[10:11]
	v_cndmask_b32_e32 v27, v2, v27, vcc
; %bb.326:                              ;   in Loop: Header=BB4_114 Depth=3
	s_or_b64 exec, exec, s[18:19]
	v_mov_b32_e32 v10, v41
	v_mov_b32_e32 v11, v18
	v_cmp_lt_u64_e32 vcc, s[36:37], v[10:11]
	v_mov_b32_e32 v62, 0
	v_mov_b32_e32 v46, 0
	s_and_saveexec_b64 s[18:19], vcc
	s_cbranch_execz .LBB4_334
; %bb.327:                              ;   in Loop: Header=BB4_114 Depth=3
	v_lshrrev_b32_e32 v2, 24, v18
	v_cmp_ne_u32_e32 vcc, s66, v2
	v_bfrev_b32_e32 v46, 1
	s_and_saveexec_b64 s[48:49], vcc
	s_cbranch_execz .LBB4_333
; %bb.328:                              ;   in Loop: Header=BB4_114 Depth=3
	v_and_b32_e32 v23, 0x7c000000, v18
	v_bfe_u32 v22, v18, 24, 2
	v_cmp_ne_u32_e32 vcc, s70, v23
                                        ; implicit-def: $vgpr46
	s_and_saveexec_b64 s[50:51], vcc
	s_xor_b64 s[50:51], exec, s[50:51]
	s_cbranch_execz .LBB4_330
; %bb.329:                              ;   in Loop: Header=BB4_114 Depth=3
	v_ffbh_u32_e32 v10, v22
	v_min_u32_e32 v36, 32, v10
	v_bfe_u32 v23, v18, 26, 5
	v_subrev_u32_e32 v10, 29, v36
	v_lshlrev_b64 v[10:11], v10, v[2:3]
	v_sub_u32_e32 v2, 30, v36
	v_cmp_eq_u32_e32 vcc, 0, v23
	v_cndmask_b32_e32 v2, v23, v2, vcc
	v_and_b32_e32 v10, 3, v10
	v_lshl_add_u32 v2, v2, 23, v25
	v_cndmask_b32_e32 v10, v22, v10, vcc
	v_and_or_b32 v2, v18, s65, v2
	v_lshl_or_b32 v46, v10, 21, v2
                                        ; implicit-def: $vgpr22
                                        ; implicit-def: $vgpr10_vgpr11
.LBB4_330:                              ;   in Loop: Header=BB4_114 Depth=3
	s_andn2_saveexec_b64 s[50:51], s[50:51]
; %bb.331:                              ;   in Loop: Header=BB4_114 Depth=3
	v_cmp_lt_i64_e32 vcc, -1, v[10:11]
	v_cndmask_b32_e32 v2, v47, v6, vcc
	v_cmp_eq_u32_e32 vcc, 0, v22
	v_cndmask_b32_e32 v46, v7, v2, vcc
; %bb.332:                              ;   in Loop: Header=BB4_114 Depth=3
	s_or_b64 exec, exec, s[50:51]
.LBB4_333:                              ;   in Loop: Header=BB4_114 Depth=3
	s_or_b64 exec, exec, s[48:49]
.LBB4_334:                              ;   in Loop: Header=BB4_114 Depth=3
	s_or_b64 exec, exec, s[18:19]
	v_cmp_lt_u32_e32 vcc, s37, v40
	s_and_saveexec_b64 s[18:19], vcc
	s_cbranch_execz .LBB4_342
; %bb.335:                              ;   in Loop: Header=BB4_114 Depth=3
	v_lshrrev_b32_e32 v2, 24, v40
	v_cmp_ne_u32_e32 vcc, s66, v2
	v_bfrev_b32_e32 v62, 1
	s_and_saveexec_b64 s[48:49], vcc
	s_cbranch_execz .LBB4_341
; %bb.336:                              ;   in Loop: Header=BB4_114 Depth=3
	v_and_b32_e32 v11, 0x7c000000, v40
	v_bfe_u32 v10, v40, 24, 2
	v_cmp_ne_u32_e32 vcc, s70, v11
                                        ; implicit-def: $vgpr62
	s_and_saveexec_b64 s[50:51], vcc
	s_xor_b64 s[50:51], exec, s[50:51]
	s_cbranch_execz .LBB4_338
; %bb.337:                              ;   in Loop: Header=BB4_114 Depth=3
	v_ffbh_u32_e32 v18, v10
	v_min_u32_e32 v18, 32, v18
	v_bfe_u32 v11, v40, 26, 5
	v_subrev_u32_e32 v22, 29, v18
	v_lshlrev_b64 v[22:23], v22, v[2:3]
	v_sub_u32_e32 v2, 30, v18
	v_cmp_eq_u32_e32 vcc, 0, v11
	v_cndmask_b32_e32 v2, v11, v2, vcc
	v_and_b32_e32 v18, 3, v22
	v_lshl_add_u32 v2, v2, 23, v25
	v_cndmask_b32_e32 v10, v10, v18, vcc
	v_and_or_b32 v2, v40, s65, v2
	v_lshl_or_b32 v62, v10, 21, v2
                                        ; implicit-def: $vgpr10
.LBB4_338:                              ;   in Loop: Header=BB4_114 Depth=3
	s_andn2_saveexec_b64 s[50:51], s[50:51]
; %bb.339:                              ;   in Loop: Header=BB4_114 Depth=3
	v_cmp_lt_i32_e32 vcc, -1, v40
	v_cndmask_b32_e32 v2, v47, v6, vcc
	v_cmp_eq_u32_e32 vcc, 0, v10
	v_cndmask_b32_e32 v62, v7, v2, vcc
; %bb.340:                              ;   in Loop: Header=BB4_114 Depth=3
	s_or_b64 exec, exec, s[50:51]
.LBB4_341:                              ;   in Loop: Header=BB4_114 Depth=3
	s_or_b64 exec, exec, s[48:49]
.LBB4_342:                              ;   in Loop: Header=BB4_114 Depth=3
	s_or_b64 exec, exec, s[18:19]
	v_mul_f32_e32 v11, v46, v62
	v_and_b32_sdwa v2, v11, s66 dst_sel:DWORD dst_unused:UNUSED_PAD src0_sel:BYTE_3 src1_sel:DWORD
	v_and_b32_e32 v22, 0x7f800000, v11
	v_mov_b32_e32 v23, v41
	v_and_b32_e32 v40, 0x7fffff, v11
	v_or_b32_e32 v10, 0x7b, v2
	v_cmp_ne_u64_e32 vcc, s[38:39], v[22:23]
	s_and_saveexec_b64 s[18:19], vcc
	s_xor_b64 s[48:49], exec, s[18:19]
	s_cbranch_execz .LBB4_352
; %bb.343:                              ;   in Loop: Header=BB4_114 Depth=3
	v_and_b32_e32 v22, 0x7fffffff, v11
	v_mov_b32_e32 v23, v41
	v_cmp_gt_u64_e32 vcc, s[40:41], v[22:23]
	s_and_saveexec_b64 s[50:51], vcc
	s_cbranch_execz .LBB4_351
; %bb.344:                              ;   in Loop: Header=BB4_114 Depth=3
	v_cmp_ne_u32_e32 vcc, 0, v11
	v_mov_b32_e32 v10, 0
	s_and_saveexec_b64 s[52:53], vcc
	s_cbranch_execz .LBB4_350
; %bb.345:                              ;   in Loop: Header=BB4_114 Depth=3
	v_bfe_u32 v10, v11, 23, 8
	v_sub_u32_e32 v18, 0x71, v10
	v_cmp_gt_u32_e32 vcc, s67, v10
	v_cndmask_b32_e32 v18, 0, v18, vcc
	v_cmp_eq_u32_e32 vcc, 0, v10
	v_or_b32_e32 v22, 0x800000, v40
	v_cndmask_b32_e32 v18, v18, v55, vcc
	v_add_u32_e32 v11, 0xffffff81, v10
	v_cndmask_b32_e32 v40, v22, v40, vcc
	v_add_u32_e32 v10, 21, v18
	v_cndmask_b32_e32 v23, v11, v54, vcc
	v_lshlrev_b64 v[10:11], v10, -1
	v_add_u32_e32 v22, 20, v18
	v_lshrrev_b64 v[50:51], v18, v[40:41]
	v_not_b32_e32 v11, v11
	v_not_b32_e32 v10, v10
	v_lshlrev_b64 v[36:37], v22, 1
	v_lshrrev_b32_e32 v22, 23, v50
	v_and_b32_e32 v11, 0, v11
	v_and_b32_e32 v10, v40, v10
	v_add3_u32 v23, v18, v23, v22
	v_bfe_u32 v18, v50, 21, 1
	v_add_u32_e32 v18, -1, v18
	v_cmp_eq_u64_e32 vcc, v[10:11], v[36:37]
	v_cndmask_b32_e32 v10, 0, v18, vcc
	v_add_u32_e32 v10, v10, v50
	v_and_b32_e32 v10, 0x1fffff, v10
	v_add_co_u32_e32 v10, vcc, v10, v50
	v_add_u32_e32 v22, 14, v23
	v_addc_co_u32_e32 v11, vcc, 0, v51, vcc
	v_cmp_ne_u32_e32 vcc, 0, v22
                                        ; implicit-def: $vgpr18
	s_and_saveexec_b64 s[18:19], vcc
	s_xor_b64 s[18:19], exec, s[18:19]
; %bb.346:                              ;   in Loop: Header=BB4_114 Depth=3
	v_add_u32_e32 v18, 15, v23
	v_cmp_lt_u64_e32 vcc, s[42:43], v[10:11]
	v_cndmask_b32_e32 v18, v22, v18, vcc
	v_cndmask_b32_e64 v22, 0, 1, vcc
	v_lshrrev_b64 v[10:11], v22, v[10:11]
; %bb.347:                              ;   in Loop: Header=BB4_114 Depth=3
	s_andn2_saveexec_b64 s[18:19], s[18:19]
; %bb.348:                              ;   in Loop: Header=BB4_114 Depth=3
	v_bfe_u32 v18, v10, 23, 1
; %bb.349:                              ;   in Loop: Header=BB4_114 Depth=3
	s_or_b64 exec, exec, s[18:19]
	v_lshrrev_b64 v[10:11], 21, v[10:11]
	v_cmp_gt_i32_e32 vcc, 32, v18
	v_cndmask_b32_e32 v11, 0, v11, vcc
	v_cndmask_b32_e32 v10, 3, v10, vcc
	v_cmp_eq_u64_e64 s[18:19], 0, v[10:11]
	v_min_i32_e32 v11, 31, v18
	v_lshlrev_b32_e32 v11, 2, v11
	v_cmp_eq_u32_e32 vcc, 0, v18
	v_and_b32_e32 v11, 0xfc, v11
	v_and_or_b32 v10, v10, 3, v11
	s_and_b64 s[18:19], vcc, s[18:19]
	v_cndmask_b32_e64 v10, v10, 0, s[18:19]
	v_or_b32_e32 v10, v10, v2
.LBB4_350:                              ;   in Loop: Header=BB4_114 Depth=3
	s_or_b64 exec, exec, s[52:53]
.LBB4_351:                              ;   in Loop: Header=BB4_114 Depth=3
	s_or_b64 exec, exec, s[50:51]
                                        ; implicit-def: $vgpr11
.LBB4_352:                              ;   in Loop: Header=BB4_114 Depth=3
	s_andn2_saveexec_b64 s[18:19], s[48:49]
	s_cbranch_execz .LBB4_113
; %bb.353:                              ;   in Loop: Header=BB4_114 Depth=3
	v_or_b32_sdwa v2, v11, s68 dst_sel:DWORD dst_unused:UNUSED_PAD src0_sel:BYTE_3 src1_sel:DWORD
	v_cmp_eq_u64_e32 vcc, 0, v[40:41]
	v_cndmask_b32_e32 v10, v2, v10, vcc
	s_branch .LBB4_113
.LBB4_354:                              ;   in Loop: Header=BB4_70 Depth=2
	s_or_b64 exec, exec, s[46:47]
	v_accvgpr_read_b32 v33, a11
	v_accvgpr_read_b32 v8, a42
	;; [unrolled: 1-line block ×5, first 2 shown]
	s_or_b64 exec, exec, s[44:45]
	s_and_saveexec_b64 s[18:19], s[10:11]
	s_cbranch_execz .LBB4_74
.LBB4_355:                              ;   in Loop: Header=BB4_70 Depth=2
	s_and_saveexec_b64 vcc, s[28:29]
	s_xor_b64 s[44:45], exec, vcc
	s_cbranch_execz .LBB4_370
; %bb.356:                              ;   in Loop: Header=BB4_70 Depth=2
	s_and_saveexec_b64 s[46:47], s[12:13]
	s_cbranch_execz .LBB4_369
; %bb.357:                              ;   in Loop: Header=BB4_70 Depth=2
	s_mov_b64 s[50:51], exec
	v_mbcnt_lo_u32_b32 v1, s50, 0
	v_mbcnt_hi_u32_b32 v1, s51, v1
	v_cmp_eq_u32_e32 vcc, 0, v1
	s_waitcnt vmcnt(0) lgkmcnt(0)
	buffer_wbinvl1_vol
	s_and_saveexec_b64 s[48:49], vcc
	s_cbranch_execz .LBB4_359
; %bb.358:                              ;   in Loop: Header=BB4_70 Depth=2
	s_bcnt1_i32_b64 vcc_lo, s[50:51]
	v_mov_b32_e32 v40, vcc_lo
	ds_add_u64 v0, v[40:41]
	s_trap 2
.LBB4_359:                              ;   in Loop: Header=BB4_70 Depth=2
	s_or_b64 exec, exec, s[48:49]
	s_trap 2
	ds_read_b64 v[2:3], v0
	v_accvgpr_read_b32 v4, a30
	v_add_co_u32_e32 v42, vcc, v42, v4
	v_accvgpr_read_b32 v1, a41
	v_addc_co_u32_e32 v43, vcc, v43, v1, vcc
	s_waitcnt lgkmcnt(0)
	v_cmp_lt_u64_e32 vcc, v[2:3], v[42:43]
	s_and_saveexec_b64 s[48:49], vcc
	s_cbranch_execz .LBB4_368
; %bb.360:                              ;   in Loop: Header=BB4_70 Depth=2
	s_mov_b32 s76, 0
	s_mov_b64 s[50:51], 0
                                        ; implicit-def: $sgpr52_sgpr53
                                        ; implicit-def: $sgpr54_sgpr55
	s_branch .LBB4_362
.LBB4_361:                              ;   in Loop: Header=BB4_362 Depth=3
	s_or_b64 exec, exec, s[58:59]
	s_and_b64 vcc, exec, vcc
	s_or_b64 s[50:51], vcc, s[50:51]
	s_andn2_b64 vcc, s[52:53], exec
	s_and_b64 s[52:53], s[54:55], exec
	s_or_b64 s[52:53], vcc, s[52:53]
	s_andn2_b64 exec, exec, s[50:51]
	s_cbranch_execz .LBB4_366
.LBB4_362:                              ;   Parent Loop BB4_21 Depth=1
                                        ;     Parent Loop BB4_70 Depth=2
                                        ; =>    This Inner Loop Header: Depth=3
	s_add_i32 s76, s76, 1
	s_cmpk_lg_i32 s76, 0x2710
	s_cselect_b64 s[56:57], -1, 0
	s_and_b64 vcc, exec, s[56:57]
                                        ; implicit-def: $sgpr58_sgpr59
	s_cbranch_vccnz .LBB4_364
; %bb.363:                              ;   in Loop: Header=BB4_362 Depth=3
	s_trap 2
	ds_read_b64 v[2:3], v0
	s_andn2_b64 s[56:57], s[56:57], exec
	s_mov_b32 s76, 0
	s_mov_b64 s[58:59], -1
	s_waitcnt lgkmcnt(0)
	flat_load_dword v1, v[2:3] glc
	s_waitcnt vmcnt(0) lgkmcnt(0)
	buffer_invl2
	buffer_wbinvl1_vol
	v_cmp_eq_u32_e32 vcc, 0, v1
	s_and_b64 vcc, vcc, exec
	s_or_b64 s[56:57], s[56:57], vcc
.LBB4_364:                              ;   in Loop: Header=BB4_362 Depth=3
	s_andn2_b64 s[54:55], s[54:55], exec
	s_and_b64 s[58:59], s[58:59], exec
	s_mov_b64 vcc, -1
	s_or_b64 s[54:55], s[54:55], s[58:59]
	s_and_saveexec_b64 s[58:59], s[56:57]
	s_cbranch_execz .LBB4_361
; %bb.365:                              ;   in Loop: Header=BB4_362 Depth=3
	s_sleep 1
	s_trap 2
	ds_read_b64 v[2:3], v0
	s_andn2_b64 s[54:55], s[54:55], exec
	s_waitcnt lgkmcnt(0)
	v_cmp_ge_u64_e32 vcc, v[2:3], v[42:43]
	s_orn2_b64 vcc, vcc, exec
	s_branch .LBB4_361
.LBB4_366:                              ;   in Loop: Header=BB4_70 Depth=2
	s_or_b64 exec, exec, s[50:51]
	s_and_saveexec_b64 vcc, s[52:53]
	s_xor_b64 vcc, exec, vcc
	s_cbranch_execz .LBB4_368
; %bb.367:                              ;   in Loop: Header=BB4_70 Depth=2
	v_mov_b32_e32 v1, 1
	ds_write_b32 v0, v1
	s_trap 2
.LBB4_368:                              ;   in Loop: Header=BB4_70 Depth=2
	s_or_b64 exec, exec, s[48:49]
	;;#ASMSTART
	s_wakeup
	;;#ASMEND
.LBB4_369:                              ;   in Loop: Header=BB4_70 Depth=2
	s_or_b64 exec, exec, s[46:47]
.LBB4_370:                              ;   in Loop: Header=BB4_70 Depth=2
	s_andn2_saveexec_b64 vcc, s[44:45]
	s_cbranch_execz .LBB4_372
; %bb.371:                              ;   in Loop: Header=BB4_70 Depth=2
	s_waitcnt vmcnt(0) lgkmcnt(0)
	buffer_wbinvl1_vol
	s_barrier
.LBB4_372:                              ;   in Loop: Header=BB4_70 Depth=2
	s_or_b64 exec, exec, vcc
	s_or_b64 exec, exec, s[18:19]
	s_and_saveexec_b64 s[18:19], s[14:15]
	s_cbranch_execnz .LBB4_75
	s_branch .LBB4_76
.LBB4_373:                              ;   in Loop: Header=BB4_21 Depth=1
	v_accvgpr_write_b32 a46, v1
	v_accvgpr_write_b32 a45, v2
	v_pk_mov_b32 v[16:17], v[28:29], v[28:29] op_sel:[0,1]
	s_branch .LBB4_375
.LBB4_374:                              ;   in Loop: Header=BB4_21 Depth=1
	v_accvgpr_read_b32 v51, a5
	v_accvgpr_read_b32 v37, a25
	v_accvgpr_read_b32 v49, a37
	v_pk_mov_b32 v[16:17], v[28:29], v[28:29] op_sel:[0,1]
	v_accvgpr_read_b32 v50, a4
	v_accvgpr_read_b32 v36, a24
	;; [unrolled: 1-line block ×3, first 2 shown]
.LBB4_375:                              ;   in Loop: Header=BB4_21 Depth=1
	v_accvgpr_read_b32 v4, a45
	v_accvgpr_read_b32 v5, a46
; %bb.376:                              ;   in Loop: Header=BB4_21 Depth=1
	s_and_saveexec_b64 s[18:19], s[16:17]
	s_cbranch_execnz .LBB4_379
; %bb.377:                              ;   in Loop: Header=BB4_21 Depth=1
	s_or_b64 exec, exec, s[18:19]
	s_and_saveexec_b64 s[16:17], s[10:11]
	s_cbranch_execnz .LBB4_640
.LBB4_378:                              ;   in Loop: Header=BB4_21 Depth=1
	s_or_b64 exec, exec, s[16:17]
	s_and_saveexec_b64 s[16:17], s[14:15]
	s_cbranch_execz .LBB4_20
	s_branch .LBB4_658
.LBB4_379:                              ;   in Loop: Header=BB4_21 Depth=1
	v_accvgpr_read_b32 v0, a6
	v_accvgpr_read_b32 v1, a7
	flat_load_dword v8, v[0:1]
	s_waitcnt vmcnt(0) lgkmcnt(0)
	v_accvgpr_read_b32 v2, a12
	v_accvgpr_read_b32 v3, a13
	v_add_co_u32_e32 v2, vcc, v2, v4
	v_addc_co_u32_e32 v3, vcc, v3, v5, vcc
	v_accvgpr_read_b32 v0, a34
	v_add_co_u32_e32 v0, vcc, v0, v4
	v_and_b32_e32 v4, 7, v34
	v_accvgpr_read_b32 v1, a35
	v_mul_lo_u32 v4, v4, s60
	v_addc_co_u32_e32 v1, vcc, v1, v5, vcc
	v_ashrrev_i32_e32 v5, 31, v4
	v_accvgpr_write_b32 a36, v48
	v_lshlrev_b64 v[4:5], 4, v[4:5]
	v_accvgpr_read_b32 v10, a18
	v_accvgpr_write_b32 a37, v49
	v_accvgpr_read_b32 v11, a19
	v_add_co_u32_e32 v49, vcc, v10, v4
	v_addc_co_u32_e32 v44, vcc, v11, v5, vcc
	v_accvgpr_read_b32 v5, a27
	v_accvgpr_read_b32 v9, a26
	v_accvgpr_write_b32 a45, v17
	v_accvgpr_write_b32 a44, v16
	v_add_u32_e32 v48, 1, v34
	s_mov_b64 s[44:45], 0
	v_accvgpr_read_b32 v26, a2
	v_ashrrev_i32_e32 v4, 31, v8
	v_mul_lo_u32 v5, v5, v8
	v_mad_u64_u32 v[2:3], s[16:17], v9, v8, v[2:3]
	v_mul_lo_u32 v4, v9, v4
	v_add3_u32 v3, v5, v3, v4
	v_accvgpr_read_b32 v4, a32
	v_add_co_u32_e32 v18, vcc, v2, v4
	v_accvgpr_read_b32 v5, a3
	v_addc_co_u32_e32 v19, vcc, v3, v5, vcc
	s_branch .LBB4_381
.LBB4_380:                              ;   in Loop: Header=BB4_381 Depth=2
	v_add_co_u32_e32 v18, vcc, v18, v56
	v_addc_co_u32_e32 v19, vcc, v19, v57, vcc
	v_add_co_u32_e32 v0, vcc, v0, v56
	v_addc_co_u32_e32 v1, vcc, v1, v57, vcc
	v_sub_u32_e32 v60, v60, v56
	v_cmp_gt_i32_e32 vcc, 1, v60
	s_or_b64 s[44:45], vcc, s[44:45]
	v_add_u32_e32 v26, v26, v20
	s_andn2_b64 exec, exec, s[44:45]
	s_cbranch_execz .LBB4_639
.LBB4_381:                              ;   Parent Loop BB4_21 Depth=1
                                        ; =>  This Loop Header: Depth=2
                                        ;       Child Loop BB4_389 Depth 3
	v_and_b32_e32 v2, -4, v18
	v_mov_b32_e32 v3, v19
	global_load_dword v8, v[2:3], off glc slc
	v_min_u32_e32 v4, 8, v60
	v_and_b32_e32 v5, 3, v18
	v_add_co_u32_e32 v4, vcc, v5, v4
	v_addc_co_u32_e64 v5, s[16:17], 0, 0, vcc
	v_mov_b32_e32 v31, 0
	v_cmp_lt_u64_e32 vcc, 4, v[4:5]
	v_mov_b32_e32 v32, 0
	s_and_saveexec_b64 s[16:17], vcc
	s_cbranch_execz .LBB4_383
; %bb.382:                              ;   in Loop: Header=BB4_381 Depth=2
	global_load_dword v32, v[2:3], off offset:4 glc slc
.LBB4_383:                              ;   in Loop: Header=BB4_381 Depth=2
	s_or_b64 exec, exec, s[16:17]
	v_cmp_lt_u64_e32 vcc, 8, v[4:5]
	s_and_saveexec_b64 s[16:17], vcc
	s_cbranch_execz .LBB4_385
; %bb.384:                              ;   in Loop: Header=BB4_381 Depth=2
	global_load_dword v31, v[2:3], off offset:8 glc slc
.LBB4_385:                              ;   in Loop: Header=BB4_381 Depth=2
	s_or_b64 exec, exec, s[16:17]
	v_ashrrev_i32_e32 v27, 31, v26
	v_lshlrev_b64 v[2:3], 4, v[26:27]
	v_add_co_u32_e32 v28, vcc, v49, v2
	v_addc_co_u32_e32 v29, vcc, v44, v3, vcc
	global_load_dwordx4 v[2:5], v[28:29], off glc slc
	v_cmp_eq_u32_e32 vcc, 0, v24
	s_and_saveexec_b64 s[46:47], vcc
	s_cbranch_execz .LBB4_397
; %bb.386:                              ;   in Loop: Header=BB4_381 Depth=2
	s_waitcnt vmcnt(0)
	v_cmp_ne_u32_e32 vcc, v48, v3
	v_cmp_ne_u32_e64 s[16:17], v48, v5
	s_or_b64 s[16:17], vcc, s[16:17]
	v_mov_b32_e32 v24, 0
	s_and_saveexec_b64 s[48:49], s[16:17]
	s_cbranch_execz .LBB4_396
; %bb.387:                              ;   in Loop: Header=BB4_381 Depth=2
	s_mov_b32 s54, 1
	s_mov_b64 s[50:51], 0
	v_mov_b32_e32 v24, 0
	s_branch .LBB4_389
.LBB4_388:                              ;   in Loop: Header=BB4_389 Depth=3
	s_or_b64 exec, exec, s[52:53]
	s_and_b64 s[16:17], exec, s[16:17]
	s_or_b64 s[50:51], s[16:17], s[50:51]
	s_andn2_b64 exec, exec, s[50:51]
	s_cbranch_execz .LBB4_395
.LBB4_389:                              ;   Parent Loop BB4_21 Depth=1
                                        ;     Parent Loop BB4_381 Depth=2
                                        ; =>    This Inner Loop Header: Depth=3
	global_load_dwordx4 v[2:5], v[28:29], off glc slc
	s_add_i32 s54, s54, 1
	s_cmpk_lg_i32 s54, 0x2710
	s_cbranch_scc1 .LBB4_393
; %bb.390:                              ;   in Loop: Header=BB4_389 Depth=3
	s_trap 2
	ds_read_b64 v[10:11], v0
	s_waitcnt vmcnt(0) lgkmcnt(0)
	flat_load_dword v9, v[10:11] glc
	s_waitcnt vmcnt(0) lgkmcnt(0)
	buffer_invl2
	buffer_wbinvl1_vol
	v_cmp_ne_u32_e32 vcc, 0, v9
	s_and_saveexec_b64 s[16:17], vcc
	s_cbranch_execz .LBB4_392
; %bb.391:                              ;   in Loop: Header=BB4_389 Depth=3
	v_mov_b32_e32 v24, 1
	ds_write_b32 v0, v9
	s_trap 2
.LBB4_392:                              ;   in Loop: Header=BB4_389 Depth=3
	s_or_b64 exec, exec, s[16:17]
	s_mov_b32 s54, 0
	v_mov_b32_e32 v9, v24
	v_cmp_eq_u32_e32 vcc, 0, v9
	s_mov_b64 s[16:17], -1
	s_and_saveexec_b64 s[52:53], vcc
	s_cbranch_execz .LBB4_388
	s_branch .LBB4_394
.LBB4_393:                              ;   in Loop: Header=BB4_389 Depth=3
	v_mov_b32_e32 v9, 0
	v_cmp_eq_u32_e32 vcc, 0, v9
	s_mov_b64 s[16:17], -1
	s_and_saveexec_b64 s[52:53], vcc
	s_cbranch_execz .LBB4_388
.LBB4_394:                              ;   in Loop: Header=BB4_389 Depth=3
	s_waitcnt vmcnt(0)
	v_cmp_eq_u32_e32 vcc, v48, v3
	v_cmp_eq_u32_e64 s[16:17], v48, v5
	s_and_b64 s[16:17], vcc, s[16:17]
	s_orn2_b64 s[16:17], s[16:17], exec
	s_branch .LBB4_388
.LBB4_395:                              ;   in Loop: Header=BB4_381 Depth=2
	s_or_b64 exec, exec, s[50:51]
.LBB4_396:                              ;   in Loop: Header=BB4_381 Depth=2
	s_or_b64 exec, exec, s[48:49]
.LBB4_397:                              ;   in Loop: Header=BB4_381 Depth=2
	s_or_b64 exec, exec, s[46:47]
	s_waitcnt vmcnt(0)
	v_cmp_ne_u16_sdwa vcc, v2, v41 src0_sel:BYTE_0 src1_sel:DWORD
	v_mov_b32_e32 v9, 0
	v_mov_b32_e32 v10, 0
	s_and_saveexec_b64 s[16:17], vcc
	s_cbranch_execz .LBB4_405
; %bb.398:                              ;   in Loop: Header=BB4_381 Depth=2
	v_cmp_ne_u16_sdwa vcc, sext(v2), s63 src0_sel:BYTE_0 src1_sel:DWORD
	v_bfrev_b32_e32 v10, 1
	s_and_saveexec_b64 s[46:47], vcc
	s_cbranch_execz .LBB4_404
; %bb.399:                              ;   in Loop: Header=BB4_381 Depth=2
	v_and_b32_e32 v10, 0x7c, v2
	v_and_b32_e32 v11, 3, v2
	v_cmp_ne_u32_e32 vcc, s64, v10
                                        ; implicit-def: $vgpr10
	s_and_saveexec_b64 s[48:49], vcc
	s_xor_b64 s[48:49], exec, s[48:49]
	s_cbranch_execz .LBB4_401
; %bb.400:                              ;   in Loop: Header=BB4_381 Depth=2
	v_ffbh_u32_e32 v16, v11
	v_min_u32_e32 v16, 32, v16
	v_bfe_u32 v10, v2, 2, 5
	v_subrev_u32_e32 v17, 29, v16
	v_lshlrev_b64 v[22:23], v17, v[2:3]
	v_sub_u32_e32 v3, 30, v16
	v_cmp_eq_u32_e32 vcc, 0, v10
	v_and_b32_e32 v16, 3, v22
	v_cndmask_b32_e32 v3, v10, v3, vcc
	v_cndmask_b32_e32 v10, v11, v16, vcc
	v_lshlrev_b32_e32 v11, 24, v2
	v_lshl_add_u32 v3, v3, 23, v25
	v_and_or_b32 v3, v11, s65, v3
	v_lshl_or_b32 v10, v10, 21, v3
                                        ; implicit-def: $vgpr11
.LBB4_401:                              ;   in Loop: Header=BB4_381 Depth=2
	s_andn2_saveexec_b64 s[48:49], s[48:49]
; %bb.402:                              ;   in Loop: Header=BB4_381 Depth=2
	v_cmp_gt_i16_sdwa vcc, sext(v2), v30 src0_sel:BYTE_0 src1_sel:DWORD
	v_cndmask_b32_e32 v3, v47, v6, vcc
	v_cmp_eq_u32_e32 vcc, 0, v11
	v_cndmask_b32_e32 v10, v7, v3, vcc
; %bb.403:                              ;   in Loop: Header=BB4_381 Depth=2
	s_or_b64 exec, exec, s[48:49]
.LBB4_404:                              ;   in Loop: Header=BB4_381 Depth=2
	s_or_b64 exec, exec, s[46:47]
.LBB4_405:                              ;   in Loop: Header=BB4_381 Depth=2
	s_or_b64 exec, exec, s[16:17]
	v_lshlrev_b32_e32 v27, 3, v18
	v_alignbit_b32 v40, v32, v8, v27
	v_cmp_ne_u16_sdwa vcc, v40, v41 src0_sel:BYTE_0 src1_sel:DWORD
	s_and_saveexec_b64 s[16:17], vcc
	s_cbranch_execz .LBB4_413
; %bb.406:                              ;   in Loop: Header=BB4_381 Depth=2
	v_cmp_ne_u16_sdwa vcc, sext(v40), s63 src0_sel:BYTE_0 src1_sel:DWORD
	v_bfrev_b32_e32 v9, 1
	s_and_saveexec_b64 s[46:47], vcc
	s_cbranch_execz .LBB4_412
; %bb.407:                              ;   in Loop: Header=BB4_381 Depth=2
	v_and_b32_e32 v8, 0x7c, v40
	v_and_b32_e32 v3, 3, v40
	v_cmp_ne_u32_e32 vcc, s64, v8
                                        ; implicit-def: $vgpr9
	s_and_saveexec_b64 s[48:49], vcc
	s_xor_b64 s[48:49], exec, s[48:49]
	s_cbranch_execz .LBB4_409
; %bb.408:                              ;   in Loop: Header=BB4_381 Depth=2
	v_ffbh_u32_e32 v8, v3
	v_min_u32_e32 v16, 32, v8
	v_subrev_u32_e32 v8, 29, v16
	v_bfe_u32 v11, v40, 2, 5
	v_lshlrev_b64 v[8:9], v8, v[40:41]
	v_sub_u32_e32 v9, 30, v16
	v_cmp_eq_u32_e32 vcc, 0, v11
	v_and_b32_e32 v8, 3, v8
	v_cndmask_b32_e32 v9, v11, v9, vcc
	v_cndmask_b32_e32 v3, v3, v8, vcc
	v_lshlrev_b32_e32 v8, 24, v40
	v_lshl_add_u32 v9, v9, 23, v25
	v_and_or_b32 v8, v8, s65, v9
	v_lshl_or_b32 v9, v3, 21, v8
                                        ; implicit-def: $vgpr3
.LBB4_409:                              ;   in Loop: Header=BB4_381 Depth=2
	s_andn2_saveexec_b64 s[48:49], s[48:49]
; %bb.410:                              ;   in Loop: Header=BB4_381 Depth=2
	v_cmp_gt_i16_sdwa vcc, sext(v40), v30 src0_sel:BYTE_0 src1_sel:DWORD
	v_cndmask_b32_e32 v8, v47, v6, vcc
	v_cmp_eq_u32_e32 vcc, 0, v3
	v_cndmask_b32_e32 v9, v7, v8, vcc
; %bb.411:                              ;   in Loop: Header=BB4_381 Depth=2
	s_or_b64 exec, exec, s[48:49]
.LBB4_412:                              ;   in Loop: Header=BB4_381 Depth=2
	s_or_b64 exec, exec, s[46:47]
.LBB4_413:                              ;   in Loop: Header=BB4_381 Depth=2
	s_or_b64 exec, exec, s[16:17]
	v_mul_f32_e32 v9, v10, v9
	v_and_b32_sdwa v3, v9, s66 dst_sel:DWORD dst_unused:UNUSED_PAD src0_sel:BYTE_3 src1_sel:DWORD
	v_and_b32_e32 v22, 0x7f800000, v9
	v_mov_b32_e32 v23, v41
	v_and_b32_e32 v10, 0x7fffff, v9
	v_mov_b32_e32 v11, v41
	v_or_b32_e32 v8, 0x7b, v3
	v_cmp_ne_u64_e32 vcc, s[38:39], v[22:23]
	s_and_saveexec_b64 s[16:17], vcc
	s_xor_b64 s[46:47], exec, s[16:17]
	s_cbranch_execz .LBB4_423
; %bb.414:                              ;   in Loop: Header=BB4_381 Depth=2
	v_and_b32_e32 v22, 0x7fffffff, v9
	v_mov_b32_e32 v23, v41
	v_cmp_gt_u64_e32 vcc, s[40:41], v[22:23]
	s_and_saveexec_b64 s[48:49], vcc
	s_cbranch_execz .LBB4_422
; %bb.415:                              ;   in Loop: Header=BB4_381 Depth=2
	v_cmp_ne_u32_e32 vcc, 0, v9
	v_mov_b32_e32 v8, 0
	s_and_saveexec_b64 s[50:51], vcc
	s_cbranch_execz .LBB4_421
; %bb.416:                              ;   in Loop: Header=BB4_381 Depth=2
	v_bfe_u32 v8, v9, 23, 8
	v_sub_u32_e32 v16, 0x71, v8
	v_cmp_gt_u32_e32 vcc, s67, v8
	v_cndmask_b32_e32 v16, 0, v16, vcc
	v_cmp_eq_u32_e32 vcc, 0, v8
	v_cndmask_b32_e32 v16, v16, v55, vcc
	v_add_u32_e32 v9, 0xffffff81, v8
	v_add_u32_e32 v8, 21, v16
	v_or_b32_e32 v17, 0x800000, v10
	v_cndmask_b32_e32 v21, v9, v54, vcc
	v_lshlrev_b64 v[8:9], v8, -1
	v_cndmask_b32_e32 v10, v17, v10, vcc
	v_not_b32_e32 v8, v8
	v_and_b32_e32 v22, v10, v8
	v_add_u32_e32 v8, 20, v16
	v_lshrrev_b64 v[10:11], v16, v[10:11]
	v_not_b32_e32 v9, v9
	v_lshlrev_b64 v[28:29], v8, 1
	v_lshrrev_b32_e32 v8, 23, v10
	v_and_b32_e32 v23, 0, v9
	v_add3_u32 v21, v16, v21, v8
	v_bfe_u32 v8, v10, 21, 1
	v_add_u32_e32 v8, -1, v8
	v_cmp_eq_u64_e32 vcc, v[22:23], v[28:29]
	v_cndmask_b32_e32 v8, 0, v8, vcc
	v_add_u32_e32 v8, v8, v10
	v_and_b32_e32 v8, 0x1fffff, v8
	v_add_co_u32_e32 v10, vcc, v8, v10
	v_add_u32_e32 v9, 14, v21
	v_addc_co_u32_e32 v11, vcc, 0, v11, vcc
	v_cmp_ne_u32_e32 vcc, 0, v9
                                        ; implicit-def: $vgpr8
	s_and_saveexec_b64 s[16:17], vcc
	s_xor_b64 s[16:17], exec, s[16:17]
; %bb.417:                              ;   in Loop: Header=BB4_381 Depth=2
	v_add_u32_e32 v8, 15, v21
	v_cmp_lt_u64_e32 vcc, s[42:43], v[10:11]
	v_cndmask_b32_e32 v8, v9, v8, vcc
	v_cndmask_b32_e64 v9, 0, 1, vcc
	v_lshrrev_b64 v[10:11], v9, v[10:11]
; %bb.418:                              ;   in Loop: Header=BB4_381 Depth=2
	s_andn2_saveexec_b64 s[16:17], s[16:17]
; %bb.419:                              ;   in Loop: Header=BB4_381 Depth=2
	v_bfe_u32 v8, v10, 23, 1
; %bb.420:                              ;   in Loop: Header=BB4_381 Depth=2
	s_or_b64 exec, exec, s[16:17]
	v_lshrrev_b64 v[10:11], 21, v[10:11]
	v_cmp_gt_i32_e32 vcc, 32, v8
	v_cndmask_b32_e32 v11, 0, v11, vcc
	v_cndmask_b32_e32 v10, 3, v10, vcc
	v_cmp_eq_u32_e32 vcc, 0, v8
	v_min_i32_e32 v8, 31, v8
	v_cmp_eq_u64_e64 s[16:17], 0, v[10:11]
	v_lshlrev_b32_e32 v8, 2, v8
	v_and_or_b32 v8, v10, 3, v8
	s_and_b64 s[16:17], vcc, s[16:17]
	v_cndmask_b32_e64 v8, v8, 0, s[16:17]
	v_or_b32_e32 v8, v8, v3
.LBB4_421:                              ;   in Loop: Header=BB4_381 Depth=2
	s_or_b64 exec, exec, s[50:51]
.LBB4_422:                              ;   in Loop: Header=BB4_381 Depth=2
	s_or_b64 exec, exec, s[48:49]
                                        ; implicit-def: $vgpr9
                                        ; implicit-def: $vgpr10_vgpr11
.LBB4_423:                              ;   in Loop: Header=BB4_381 Depth=2
	s_andn2_saveexec_b64 s[16:17], s[46:47]
; %bb.424:                              ;   in Loop: Header=BB4_381 Depth=2
	v_or_b32_sdwa v3, v9, s68 dst_sel:DWORD dst_unused:UNUSED_PAD src0_sel:BYTE_3 src1_sel:DWORD
	v_cmp_eq_u64_e32 vcc, 0, v[10:11]
	v_cndmask_b32_e32 v8, v3, v8, vcc
; %bb.425:                              ;   in Loop: Header=BB4_381 Depth=2
	s_or_b64 exec, exec, s[16:17]
	v_lshrrev_b16_e32 v10, 8, v2
	v_cmp_ne_u16_e32 vcc, 0, v10
	v_mov_b32_e32 v3, 0
	v_mov_b32_e32 v9, 0
	s_and_saveexec_b64 s[16:17], vcc
	s_cbranch_execz .LBB4_433
; %bb.426:                              ;   in Loop: Header=BB4_381 Depth=2
	v_cmp_ne_u16_e32 vcc, s66, v10
	v_bfrev_b32_e32 v9, 1
	s_and_saveexec_b64 s[46:47], vcc
	s_cbranch_execz .LBB4_432
; %bb.427:                              ;   in Loop: Header=BB4_381 Depth=2
	v_and_b32_e32 v9, 0x7c, v10
	v_and_b32_e32 v21, 3, v10
	v_cmp_ne_u32_e32 vcc, s64, v9
                                        ; implicit-def: $vgpr9
	s_and_saveexec_b64 s[48:49], vcc
	s_xor_b64 s[48:49], exec, s[48:49]
	s_cbranch_execz .LBB4_429
; %bb.428:                              ;   in Loop: Header=BB4_381 Depth=2
	v_ffbh_u32_e32 v16, v21
	v_min_u32_e32 v16, 32, v16
	v_mov_b32_e32 v11, v41
	v_subrev_u32_e32 v17, 29, v16
	v_bfe_u32 v9, v10, 2, 5
	v_lshlrev_b64 v[10:11], v17, v[10:11]
	v_sub_u32_e32 v11, 30, v16
	v_cmp_eq_u32_e32 vcc, 0, v9
	v_cndmask_b32_e32 v9, v9, v11, vcc
	v_and_b32_e32 v10, 3, v10
	v_lshlrev_b32_e32 v11, 16, v2
	v_lshl_add_u32 v9, v9, 23, v25
	v_cndmask_b32_e32 v10, v21, v10, vcc
	v_and_or_b32 v9, v11, s65, v9
	v_lshl_or_b32 v9, v10, 21, v9
                                        ; implicit-def: $vgpr21
.LBB4_429:                              ;   in Loop: Header=BB4_381 Depth=2
	s_andn2_saveexec_b64 s[48:49], s[48:49]
; %bb.430:                              ;   in Loop: Header=BB4_381 Depth=2
	v_cmp_lt_i16_e32 vcc, -1, v2
	v_cndmask_b32_e32 v9, v47, v6, vcc
	v_cmp_eq_u32_e32 vcc, 0, v21
	v_cndmask_b32_e32 v9, v7, v9, vcc
; %bb.431:                              ;   in Loop: Header=BB4_381 Depth=2
	s_or_b64 exec, exec, s[48:49]
.LBB4_432:                              ;   in Loop: Header=BB4_381 Depth=2
	s_or_b64 exec, exec, s[46:47]
.LBB4_433:                              ;   in Loop: Header=BB4_381 Depth=2
	s_or_b64 exec, exec, s[16:17]
	v_lshrrev_b16_e32 v10, 8, v40
	v_cmp_ne_u16_e32 vcc, 0, v10
	s_and_saveexec_b64 s[16:17], vcc
	s_cbranch_execz .LBB4_441
; %bb.434:                              ;   in Loop: Header=BB4_381 Depth=2
	v_cmp_ne_u16_e32 vcc, s66, v10
	v_bfrev_b32_e32 v3, 1
	s_and_saveexec_b64 s[46:47], vcc
	s_cbranch_execz .LBB4_440
; %bb.435:                              ;   in Loop: Header=BB4_381 Depth=2
	v_and_b32_e32 v3, 0x7c, v10
	v_and_b32_e32 v21, 3, v10
	v_cmp_ne_u32_e32 vcc, s64, v3
                                        ; implicit-def: $vgpr3
	s_and_saveexec_b64 s[48:49], vcc
	s_xor_b64 s[48:49], exec, s[48:49]
	s_cbranch_execz .LBB4_437
; %bb.436:                              ;   in Loop: Header=BB4_381 Depth=2
	v_ffbh_u32_e32 v16, v21
	v_min_u32_e32 v16, 32, v16
	v_mov_b32_e32 v11, v41
	v_subrev_u32_e32 v17, 29, v16
	v_bfe_u32 v3, v10, 2, 5
	v_lshlrev_b64 v[10:11], v17, v[10:11]
	v_sub_u32_e32 v11, 30, v16
	v_cmp_eq_u32_e32 vcc, 0, v3
	v_cndmask_b32_e32 v3, v3, v11, vcc
	v_and_b32_e32 v10, 3, v10
	v_lshlrev_b32_e32 v11, 16, v40
	v_lshl_add_u32 v3, v3, 23, v25
	v_cndmask_b32_e32 v10, v21, v10, vcc
	v_and_or_b32 v3, v11, s65, v3
	v_lshl_or_b32 v3, v10, 21, v3
                                        ; implicit-def: $vgpr21
.LBB4_437:                              ;   in Loop: Header=BB4_381 Depth=2
	s_andn2_saveexec_b64 s[48:49], s[48:49]
; %bb.438:                              ;   in Loop: Header=BB4_381 Depth=2
	v_cmp_lt_i16_e32 vcc, -1, v40
	v_cndmask_b32_e32 v3, v47, v6, vcc
	v_cmp_eq_u32_e32 vcc, 0, v21
	v_cndmask_b32_e32 v3, v7, v3, vcc
; %bb.439:                              ;   in Loop: Header=BB4_381 Depth=2
	s_or_b64 exec, exec, s[48:49]
.LBB4_440:                              ;   in Loop: Header=BB4_381 Depth=2
	s_or_b64 exec, exec, s[46:47]
.LBB4_441:                              ;   in Loop: Header=BB4_381 Depth=2
	s_or_b64 exec, exec, s[16:17]
	v_mul_f32_e32 v21, v9, v3
	v_and_b32_sdwa v3, v21, s66 dst_sel:DWORD dst_unused:UNUSED_PAD src0_sel:BYTE_3 src1_sel:DWORD
	v_and_b32_e32 v22, 0x7f800000, v21
	v_mov_b32_e32 v23, v41
	v_and_b32_e32 v10, 0x7fffff, v21
	v_mov_b32_e32 v11, v41
	v_or_b32_e32 v9, 0x7b, v3
	v_cmp_ne_u64_e32 vcc, s[38:39], v[22:23]
	s_and_saveexec_b64 s[16:17], vcc
	s_xor_b64 s[46:47], exec, s[16:17]
	s_cbranch_execz .LBB4_451
; %bb.442:                              ;   in Loop: Header=BB4_381 Depth=2
	v_and_b32_e32 v22, 0x7fffffff, v21
	v_mov_b32_e32 v23, v41
	v_cmp_gt_u64_e32 vcc, s[40:41], v[22:23]
	s_and_saveexec_b64 s[48:49], vcc
	s_cbranch_execz .LBB4_450
; %bb.443:                              ;   in Loop: Header=BB4_381 Depth=2
	v_cmp_ne_u32_e32 vcc, 0, v21
	v_mov_b32_e32 v9, 0
	s_and_saveexec_b64 s[50:51], vcc
	s_cbranch_execz .LBB4_449
; %bb.444:                              ;   in Loop: Header=BB4_381 Depth=2
	v_bfe_u32 v9, v21, 23, 8
	v_sub_u32_e32 v17, 0x71, v9
	v_cmp_gt_u32_e32 vcc, s67, v9
	v_cndmask_b32_e32 v17, 0, v17, vcc
	v_cmp_eq_u32_e32 vcc, 0, v9
	v_add_u32_e32 v16, 0xffffff81, v9
	v_cndmask_b32_e32 v33, v17, v55, vcc
	v_cndmask_b32_e32 v9, v16, v54, vcc
	v_add_u32_e32 v16, 21, v33
	v_or_b32_e32 v21, 0x800000, v10
	v_lshlrev_b64 v[22:23], v16, -1
	v_cndmask_b32_e32 v10, v21, v10, vcc
	v_not_b32_e32 v17, v22
	v_not_b32_e32 v16, v23
	v_and_b32_e32 v28, v10, v17
	v_lshrrev_b64 v[10:11], v33, v[10:11]
	v_and_b32_e32 v29, 0, v16
	v_add_u32_e32 v16, 20, v33
	v_lshrrev_b32_e32 v21, 23, v10
	v_lshlrev_b64 v[16:17], v16, 1
	v_add3_u32 v22, v33, v9, v21
	v_bfe_u32 v9, v10, 21, 1
	v_add_u32_e32 v9, -1, v9
	v_cmp_eq_u64_e32 vcc, v[28:29], v[16:17]
	v_cndmask_b32_e32 v9, 0, v9, vcc
	v_add_u32_e32 v9, v9, v10
	v_and_b32_e32 v9, 0x1fffff, v9
	v_add_co_u32_e32 v10, vcc, v9, v10
	v_add_u32_e32 v21, 14, v22
	v_addc_co_u32_e32 v11, vcc, 0, v11, vcc
	v_cmp_ne_u32_e32 vcc, 0, v21
                                        ; implicit-def: $vgpr9
	s_and_saveexec_b64 s[16:17], vcc
	s_xor_b64 s[16:17], exec, s[16:17]
; %bb.445:                              ;   in Loop: Header=BB4_381 Depth=2
	v_cmp_lt_u64_e32 vcc, s[42:43], v[10:11]
	v_add_u32_e32 v9, 15, v22
	v_cndmask_b32_e64 v16, 0, 1, vcc
	v_cndmask_b32_e32 v9, v21, v9, vcc
	v_lshrrev_b64 v[10:11], v16, v[10:11]
; %bb.446:                              ;   in Loop: Header=BB4_381 Depth=2
	s_andn2_saveexec_b64 s[16:17], s[16:17]
; %bb.447:                              ;   in Loop: Header=BB4_381 Depth=2
	v_bfe_u32 v9, v10, 23, 1
; %bb.448:                              ;   in Loop: Header=BB4_381 Depth=2
	s_or_b64 exec, exec, s[16:17]
	v_lshrrev_b64 v[10:11], 21, v[10:11]
	v_cmp_gt_i32_e32 vcc, 32, v9
	v_cndmask_b32_e32 v11, 0, v11, vcc
	v_cndmask_b32_e32 v10, 3, v10, vcc
	v_cmp_eq_u32_e32 vcc, 0, v9
	v_min_i32_e32 v9, 31, v9
	v_cmp_eq_u64_e64 s[16:17], 0, v[10:11]
	v_lshlrev_b32_e32 v9, 2, v9
	v_and_or_b32 v9, v10, 3, v9
	s_and_b64 s[16:17], vcc, s[16:17]
	v_cndmask_b32_e64 v9, v9, 0, s[16:17]
	v_or_b32_e32 v9, v9, v3
.LBB4_449:                              ;   in Loop: Header=BB4_381 Depth=2
	s_or_b64 exec, exec, s[50:51]
.LBB4_450:                              ;   in Loop: Header=BB4_381 Depth=2
	s_or_b64 exec, exec, s[48:49]
                                        ; implicit-def: $vgpr21
                                        ; implicit-def: $vgpr10_vgpr11
.LBB4_451:                              ;   in Loop: Header=BB4_381 Depth=2
	s_andn2_saveexec_b64 s[16:17], s[46:47]
; %bb.452:                              ;   in Loop: Header=BB4_381 Depth=2
	v_or_b32_sdwa v3, v21, s68 dst_sel:DWORD dst_unused:UNUSED_PAD src0_sel:BYTE_3 src1_sel:DWORD
	v_cmp_eq_u64_e32 vcc, 0, v[10:11]
	v_cndmask_b32_e32 v9, v3, v9, vcc
; %bb.453:                              ;   in Loop: Header=BB4_381 Depth=2
	s_or_b64 exec, exec, s[16:17]
	v_lshrrev_b32_e32 v10, 16, v2
	v_cmp_ne_u16_sdwa vcc, v10, v41 src0_sel:BYTE_0 src1_sel:DWORD
	v_mov_b32_e32 v11, 0
	v_mov_b32_e32 v3, 0
	s_and_saveexec_b64 s[16:17], vcc
	s_cbranch_execz .LBB4_461
; %bb.454:                              ;   in Loop: Header=BB4_381 Depth=2
	v_cmp_ne_u16_sdwa vcc, v10, s66 src0_sel:BYTE_0 src1_sel:DWORD
	v_bfrev_b32_e32 v3, 1
	s_and_saveexec_b64 s[46:47], vcc
	s_cbranch_execz .LBB4_460
; %bb.455:                              ;   in Loop: Header=BB4_381 Depth=2
	v_and_b32_e32 v3, 0x7c0000, v2
	v_bfe_u32 v21, v2, 16, 2
	v_cmp_ne_u32_e32 vcc, s69, v3
                                        ; implicit-def: $vgpr3
	s_and_saveexec_b64 s[48:49], vcc
	s_xor_b64 s[48:49], exec, s[48:49]
	s_cbranch_execz .LBB4_457
; %bb.456:                              ;   in Loop: Header=BB4_381 Depth=2
	v_ffbh_u32_e32 v16, v21
	v_min_u32_e32 v22, 32, v16
	v_bfe_u32 v3, v2, 18, 5
	v_subrev_u32_e32 v16, 29, v22
	v_lshlrev_b64 v[16:17], v16, v[10:11]
	v_sub_u32_e32 v10, 30, v22
	v_cmp_eq_u32_e32 vcc, 0, v3
	v_and_b32_e32 v16, 3, v16
	v_cndmask_b32_e32 v3, v3, v10, vcc
	v_cndmask_b32_e32 v10, v21, v16, vcc
	v_lshlrev_b32_e32 v16, 8, v2
	v_lshl_add_u32 v3, v3, 23, v25
	v_and_or_b32 v3, v16, s65, v3
	v_lshl_or_b32 v3, v10, 21, v3
                                        ; implicit-def: $vgpr21
                                        ; implicit-def: $vgpr10
.LBB4_457:                              ;   in Loop: Header=BB4_381 Depth=2
	s_andn2_saveexec_b64 s[48:49], s[48:49]
; %bb.458:                              ;   in Loop: Header=BB4_381 Depth=2
	v_cmp_gt_i16_sdwa vcc, sext(v10), v30 src0_sel:BYTE_0 src1_sel:DWORD
	v_cndmask_b32_e32 v3, v47, v6, vcc
	v_cmp_eq_u32_e32 vcc, 0, v21
	v_cndmask_b32_e32 v3, v7, v3, vcc
; %bb.459:                              ;   in Loop: Header=BB4_381 Depth=2
	s_or_b64 exec, exec, s[48:49]
.LBB4_460:                              ;   in Loop: Header=BB4_381 Depth=2
	s_or_b64 exec, exec, s[46:47]
.LBB4_461:                              ;   in Loop: Header=BB4_381 Depth=2
	s_or_b64 exec, exec, s[16:17]
	v_and_b32_sdwa v21, v40, s62 dst_sel:DWORD dst_unused:UNUSED_PAD src0_sel:WORD_1 src1_sel:DWORD
	v_lshrrev_b32_e32 v10, 16, v40
	v_cmp_ne_u16_e32 vcc, 0, v21
	s_and_saveexec_b64 s[16:17], vcc
	s_cbranch_execz .LBB4_469
; %bb.462:                              ;   in Loop: Header=BB4_381 Depth=2
	v_cmp_ne_u16_e32 vcc, s66, v21
	v_bfrev_b32_e32 v11, 1
	s_and_saveexec_b64 s[46:47], vcc
	s_cbranch_execz .LBB4_468
; %bb.463:                              ;   in Loop: Header=BB4_381 Depth=2
	v_and_b32_e32 v11, 0x7c0000, v40
	v_bfe_u32 v21, v40, 16, 2
	v_cmp_ne_u32_e32 vcc, s69, v11
                                        ; implicit-def: $vgpr11
	s_and_saveexec_b64 s[48:49], vcc
	s_xor_b64 s[48:49], exec, s[48:49]
	s_cbranch_execz .LBB4_465
; %bb.464:                              ;   in Loop: Header=BB4_381 Depth=2
	v_ffbh_u32_e32 v11, v21
	v_min_u32_e32 v17, 32, v11
	v_lshrrev_b32_e32 v10, 16, v40
	v_subrev_u32_e32 v11, 29, v17
	v_bfe_u32 v16, v40, 18, 5
	v_lshlrev_b64 v[10:11], v11, v[10:11]
	v_sub_u32_e32 v11, 30, v17
	v_cmp_eq_u32_e32 vcc, 0, v16
	v_cndmask_b32_e32 v11, v16, v11, vcc
	v_and_b32_e32 v10, 3, v10
	v_lshlrev_b32_e32 v16, 8, v40
	v_lshl_add_u32 v11, v11, 23, v25
	v_cndmask_b32_e32 v10, v21, v10, vcc
	v_and_or_b32 v11, v16, s65, v11
	v_lshl_or_b32 v11, v10, 21, v11
                                        ; implicit-def: $vgpr21
                                        ; implicit-def: $vgpr10
.LBB4_465:                              ;   in Loop: Header=BB4_381 Depth=2
	s_andn2_saveexec_b64 s[48:49], s[48:49]
; %bb.466:                              ;   in Loop: Header=BB4_381 Depth=2
	v_cmp_gt_i16_sdwa vcc, sext(v10), v30 src0_sel:BYTE_0 src1_sel:DWORD
	v_cndmask_b32_e32 v10, v47, v6, vcc
	v_cmp_eq_u32_e32 vcc, 0, v21
	v_cndmask_b32_e32 v11, v7, v10, vcc
; %bb.467:                              ;   in Loop: Header=BB4_381 Depth=2
	s_or_b64 exec, exec, s[48:49]
.LBB4_468:                              ;   in Loop: Header=BB4_381 Depth=2
	s_or_b64 exec, exec, s[46:47]
.LBB4_469:                              ;   in Loop: Header=BB4_381 Depth=2
	s_or_b64 exec, exec, s[16:17]
	v_mul_f32_e32 v28, v3, v11
	v_and_b32_sdwa v3, v28, s66 dst_sel:DWORD dst_unused:UNUSED_PAD src0_sel:BYTE_3 src1_sel:DWORD
	v_and_b32_e32 v16, 0x7f800000, v28
	v_mov_b32_e32 v17, v41
	v_and_b32_e32 v10, 0x7fffff, v28
	v_mov_b32_e32 v11, v41
	v_or_b32_e32 v21, 0x7b, v3
	v_cmp_ne_u64_e32 vcc, s[38:39], v[16:17]
	s_and_saveexec_b64 s[16:17], vcc
	s_xor_b64 s[46:47], exec, s[16:17]
	s_cbranch_execz .LBB4_479
; %bb.470:                              ;   in Loop: Header=BB4_381 Depth=2
	v_and_b32_e32 v16, 0x7fffffff, v28
	v_mov_b32_e32 v17, v41
	v_cmp_gt_u64_e32 vcc, s[40:41], v[16:17]
	s_and_saveexec_b64 s[48:49], vcc
	s_cbranch_execz .LBB4_478
; %bb.471:                              ;   in Loop: Header=BB4_381 Depth=2
	v_cmp_ne_u32_e32 vcc, 0, v28
	v_mov_b32_e32 v21, 0
	s_and_saveexec_b64 s[50:51], vcc
	s_cbranch_execz .LBB4_477
; %bb.472:                              ;   in Loop: Header=BB4_381 Depth=2
	v_bfe_u32 v16, v28, 23, 8
	v_sub_u32_e32 v21, 0x71, v16
	v_cmp_gt_u32_e32 vcc, s67, v16
	v_cndmask_b32_e32 v21, 0, v21, vcc
	v_cmp_eq_u32_e32 vcc, 0, v16
	v_cndmask_b32_e32 v21, v21, v55, vcc
	v_add_u32_e32 v17, 0xffffff81, v16
	v_add_u32_e32 v16, 21, v21
	v_or_b32_e32 v22, 0x800000, v10
	v_cndmask_b32_e32 v23, v17, v54, vcc
	v_lshlrev_b64 v[16:17], v16, -1
	v_cndmask_b32_e32 v10, v22, v10, vcc
	v_not_b32_e32 v16, v16
	v_and_b32_e32 v16, v10, v16
	v_add_u32_e32 v22, 20, v21
	v_lshrrev_b64 v[10:11], v21, v[10:11]
	v_not_b32_e32 v17, v17
	v_lshlrev_b64 v[28:29], v22, 1
	v_lshrrev_b32_e32 v22, 23, v10
	v_and_b32_e32 v17, 0, v17
	v_add3_u32 v23, v21, v23, v22
	v_bfe_u32 v21, v10, 21, 1
	v_add_u32_e32 v21, -1, v21
	v_cmp_eq_u64_e32 vcc, v[16:17], v[28:29]
	v_cndmask_b32_e32 v16, 0, v21, vcc
	v_add_u32_e32 v16, v16, v10
	v_and_b32_e32 v16, 0x1fffff, v16
	v_add_co_u32_e32 v10, vcc, v16, v10
	v_add_u32_e32 v22, 14, v23
	v_addc_co_u32_e32 v11, vcc, 0, v11, vcc
	v_cmp_ne_u32_e32 vcc, 0, v22
                                        ; implicit-def: $vgpr21
	s_and_saveexec_b64 s[16:17], vcc
	s_xor_b64 s[16:17], exec, s[16:17]
; %bb.473:                              ;   in Loop: Header=BB4_381 Depth=2
	v_add_u32_e32 v16, 15, v23
	v_cmp_lt_u64_e32 vcc, s[42:43], v[10:11]
	v_cndmask_b32_e32 v21, v22, v16, vcc
	v_cndmask_b32_e64 v16, 0, 1, vcc
	v_lshrrev_b64 v[10:11], v16, v[10:11]
; %bb.474:                              ;   in Loop: Header=BB4_381 Depth=2
	s_andn2_saveexec_b64 s[16:17], s[16:17]
; %bb.475:                              ;   in Loop: Header=BB4_381 Depth=2
	v_bfe_u32 v21, v10, 23, 1
; %bb.476:                              ;   in Loop: Header=BB4_381 Depth=2
	s_or_b64 exec, exec, s[16:17]
	v_lshrrev_b64 v[10:11], 21, v[10:11]
	v_cmp_gt_i32_e32 vcc, 32, v21
	v_cndmask_b32_e32 v11, 0, v11, vcc
	v_cndmask_b32_e32 v10, 3, v10, vcc
	v_cmp_eq_u64_e64 s[16:17], 0, v[10:11]
	v_min_i32_e32 v11, 31, v21
	v_cmp_eq_u32_e32 vcc, 0, v21
	v_lshlrev_b32_e32 v11, 2, v11
	v_and_or_b32 v10, v10, 3, v11
	s_and_b64 s[16:17], vcc, s[16:17]
	v_cndmask_b32_e64 v10, v10, 0, s[16:17]
	v_or_b32_e32 v21, v10, v3
.LBB4_477:                              ;   in Loop: Header=BB4_381 Depth=2
	s_or_b64 exec, exec, s[50:51]
.LBB4_478:                              ;   in Loop: Header=BB4_381 Depth=2
	s_or_b64 exec, exec, s[48:49]
                                        ; implicit-def: $vgpr28
                                        ; implicit-def: $vgpr10_vgpr11
.LBB4_479:                              ;   in Loop: Header=BB4_381 Depth=2
	s_andn2_saveexec_b64 s[16:17], s[46:47]
; %bb.480:                              ;   in Loop: Header=BB4_381 Depth=2
	v_or_b32_sdwa v3, v28, s68 dst_sel:DWORD dst_unused:UNUSED_PAD src0_sel:BYTE_3 src1_sel:DWORD
	v_cmp_eq_u64_e32 vcc, 0, v[10:11]
	v_cndmask_b32_e32 v21, v3, v21, vcc
; %bb.481:                              ;   in Loop: Header=BB4_381 Depth=2
	s_or_b64 exec, exec, s[16:17]
	v_cmp_lt_u32_e32 vcc, s37, v2
	v_mov_b32_e32 v3, 0
	v_mov_b32_e32 v11, 0
	s_and_saveexec_b64 s[16:17], vcc
	s_cbranch_execz .LBB4_489
; %bb.482:                              ;   in Loop: Header=BB4_381 Depth=2
	v_lshrrev_b32_e32 v10, 24, v2
	v_cmp_ne_u32_e32 vcc, s66, v10
	v_bfrev_b32_e32 v11, 1
	s_and_saveexec_b64 s[46:47], vcc
	s_cbranch_execz .LBB4_488
; %bb.483:                              ;   in Loop: Header=BB4_381 Depth=2
	v_and_b32_e32 v11, 0x7c000000, v2
	v_bfe_u32 v28, v2, 24, 2
	v_cmp_ne_u32_e32 vcc, s70, v11
                                        ; implicit-def: $vgpr11
	s_and_saveexec_b64 s[48:49], vcc
	s_xor_b64 s[48:49], exec, s[48:49]
	s_cbranch_execz .LBB4_485
; %bb.484:                              ;   in Loop: Header=BB4_381 Depth=2
	v_ffbh_u32_e32 v11, v28
	v_min_u32_e32 v17, 32, v11
	v_subrev_u32_e32 v11, 29, v17
	v_bfe_u32 v16, v2, 26, 5
	v_lshlrev_b64 v[10:11], v11, v[10:11]
	v_sub_u32_e32 v11, 30, v17
	v_cmp_eq_u32_e32 vcc, 0, v16
	v_cndmask_b32_e32 v11, v16, v11, vcc
	v_and_b32_e32 v10, 3, v10
	v_lshl_add_u32 v11, v11, 23, v25
	v_cndmask_b32_e32 v10, v28, v10, vcc
	v_and_or_b32 v2, v2, s65, v11
	v_lshl_or_b32 v11, v10, 21, v2
                                        ; implicit-def: $vgpr28
.LBB4_485:                              ;   in Loop: Header=BB4_381 Depth=2
	s_andn2_saveexec_b64 s[48:49], s[48:49]
; %bb.486:                              ;   in Loop: Header=BB4_381 Depth=2
	v_cmp_lt_i32_e32 vcc, -1, v2
	v_cndmask_b32_e32 v2, v47, v6, vcc
	v_cmp_eq_u32_e32 vcc, 0, v28
	v_cndmask_b32_e32 v11, v7, v2, vcc
; %bb.487:                              ;   in Loop: Header=BB4_381 Depth=2
	s_or_b64 exec, exec, s[48:49]
.LBB4_488:                              ;   in Loop: Header=BB4_381 Depth=2
	s_or_b64 exec, exec, s[46:47]
.LBB4_489:                              ;   in Loop: Header=BB4_381 Depth=2
	s_or_b64 exec, exec, s[16:17]
	v_cmp_lt_u32_e32 vcc, s37, v40
	s_and_saveexec_b64 s[16:17], vcc
	s_cbranch_execz .LBB4_497
; %bb.490:                              ;   in Loop: Header=BB4_381 Depth=2
	v_lshrrev_b32_e32 v2, 24, v40
	v_cmp_ne_u32_e32 vcc, s66, v2
	v_bfrev_b32_e32 v3, 1
	s_and_saveexec_b64 s[46:47], vcc
	s_cbranch_execz .LBB4_496
; %bb.491:                              ;   in Loop: Header=BB4_381 Depth=2
	v_and_b32_e32 v3, 0x7c000000, v40
	v_bfe_u32 v10, v40, 24, 2
	v_cmp_ne_u32_e32 vcc, s70, v3
                                        ; implicit-def: $vgpr3
	s_and_saveexec_b64 s[48:49], vcc
	s_xor_b64 s[48:49], exec, s[48:49]
	s_cbranch_execz .LBB4_493
; %bb.492:                              ;   in Loop: Header=BB4_381 Depth=2
	v_ffbh_u32_e32 v3, v10
	v_min_u32_e32 v17, 32, v3
	v_subrev_u32_e32 v3, 29, v17
	v_bfe_u32 v16, v40, 26, 5
	v_lshlrev_b64 v[2:3], v3, v[2:3]
	v_sub_u32_e32 v3, 30, v17
	v_cmp_eq_u32_e32 vcc, 0, v16
	v_cndmask_b32_e32 v3, v16, v3, vcc
	v_and_b32_e32 v2, 3, v2
	v_lshl_add_u32 v3, v3, 23, v25
	v_cndmask_b32_e32 v2, v10, v2, vcc
	v_and_or_b32 v3, v40, s65, v3
	v_lshl_or_b32 v3, v2, 21, v3
                                        ; implicit-def: $vgpr10
.LBB4_493:                              ;   in Loop: Header=BB4_381 Depth=2
	s_andn2_saveexec_b64 s[48:49], s[48:49]
; %bb.494:                              ;   in Loop: Header=BB4_381 Depth=2
	v_cmp_lt_i32_e32 vcc, -1, v40
	v_cndmask_b32_e32 v2, v47, v6, vcc
	v_cmp_eq_u32_e32 vcc, 0, v10
	v_cndmask_b32_e32 v3, v7, v2, vcc
; %bb.495:                              ;   in Loop: Header=BB4_381 Depth=2
	s_or_b64 exec, exec, s[48:49]
.LBB4_496:                              ;   in Loop: Header=BB4_381 Depth=2
	s_or_b64 exec, exec, s[46:47]
.LBB4_497:                              ;   in Loop: Header=BB4_381 Depth=2
	s_or_b64 exec, exec, s[16:17]
	v_mul_f32_e32 v2, v11, v3
	v_and_b32_sdwa v10, v2, s66 dst_sel:DWORD dst_unused:UNUSED_PAD src0_sel:BYTE_3 src1_sel:DWORD
	v_and_b32_e32 v16, 0x7f800000, v2
	v_mov_b32_e32 v17, v41
	v_and_b32_e32 v40, 0x7fffff, v2
	v_or_b32_e32 v11, 0x7b, v10
	v_cmp_ne_u64_e32 vcc, s[38:39], v[16:17]
	s_and_saveexec_b64 s[16:17], vcc
	s_xor_b64 s[46:47], exec, s[16:17]
	s_cbranch_execz .LBB4_507
; %bb.498:                              ;   in Loop: Header=BB4_381 Depth=2
	v_and_b32_e32 v16, 0x7fffffff, v2
	v_mov_b32_e32 v17, v41
	v_cmp_gt_u64_e32 vcc, s[40:41], v[16:17]
	s_and_saveexec_b64 s[48:49], vcc
	s_cbranch_execz .LBB4_506
; %bb.499:                              ;   in Loop: Header=BB4_381 Depth=2
	v_cmp_ne_u32_e32 vcc, 0, v2
	v_mov_b32_e32 v11, 0
	s_and_saveexec_b64 s[50:51], vcc
	s_cbranch_execz .LBB4_505
; %bb.500:                              ;   in Loop: Header=BB4_381 Depth=2
	v_bfe_u32 v2, v2, 23, 8
	v_sub_u32_e32 v11, 0x71, v2
	v_cmp_gt_u32_e32 vcc, s67, v2
	v_cndmask_b32_e32 v11, 0, v11, vcc
	v_cmp_eq_u32_e32 vcc, 0, v2
	v_or_b32_e32 v16, 0x800000, v40
	v_cndmask_b32_e32 v11, v11, v55, vcc
	v_add_u32_e32 v3, 0xffffff81, v2
	v_cndmask_b32_e32 v40, v16, v40, vcc
	v_add_u32_e32 v2, 21, v11
	v_cndmask_b32_e32 v22, v3, v54, vcc
	v_lshlrev_b64 v[2:3], v2, -1
	v_lshrrev_b64 v[28:29], v11, v[40:41]
	v_not_b32_e32 v3, v3
	v_not_b32_e32 v2, v2
	v_add_u32_e32 v16, 20, v11
	v_lshrrev_b32_e32 v23, 23, v28
	v_and_b32_e32 v3, 0, v3
	v_and_b32_e32 v2, v40, v2
	v_lshlrev_b64 v[16:17], v16, 1
	v_add3_u32 v23, v11, v22, v23
	v_bfe_u32 v11, v28, 21, 1
	v_add_u32_e32 v11, -1, v11
	v_cmp_eq_u64_e32 vcc, v[2:3], v[16:17]
	v_cndmask_b32_e32 v2, 0, v11, vcc
	v_add_u32_e32 v2, v2, v28
	v_and_b32_e32 v2, 0x1fffff, v2
	v_add_co_u32_e32 v2, vcc, v2, v28
	v_add_u32_e32 v22, 14, v23
	v_addc_co_u32_e32 v3, vcc, 0, v29, vcc
	v_cmp_ne_u32_e32 vcc, 0, v22
                                        ; implicit-def: $vgpr11
	s_and_saveexec_b64 s[16:17], vcc
	s_xor_b64 s[16:17], exec, s[16:17]
; %bb.501:                              ;   in Loop: Header=BB4_381 Depth=2
	v_cmp_lt_u64_e32 vcc, s[42:43], v[2:3]
	v_add_u32_e32 v11, 15, v23
	v_cndmask_b32_e64 v16, 0, 1, vcc
	v_cndmask_b32_e32 v11, v22, v11, vcc
	v_lshrrev_b64 v[2:3], v16, v[2:3]
; %bb.502:                              ;   in Loop: Header=BB4_381 Depth=2
	s_andn2_saveexec_b64 s[16:17], s[16:17]
; %bb.503:                              ;   in Loop: Header=BB4_381 Depth=2
	v_bfe_u32 v11, v2, 23, 1
; %bb.504:                              ;   in Loop: Header=BB4_381 Depth=2
	s_or_b64 exec, exec, s[16:17]
	v_lshrrev_b64 v[2:3], 21, v[2:3]
	v_cmp_gt_i32_e32 vcc, 32, v11
	v_cndmask_b32_e32 v3, 0, v3, vcc
	v_cndmask_b32_e32 v2, 3, v2, vcc
	v_cmp_eq_u64_e64 s[16:17], 0, v[2:3]
	v_min_i32_e32 v3, 31, v11
	v_cmp_eq_u32_e32 vcc, 0, v11
	v_lshlrev_b32_e32 v3, 2, v3
	v_and_or_b32 v2, v2, 3, v3
	s_and_b64 s[16:17], vcc, s[16:17]
	v_cndmask_b32_e64 v2, v2, 0, s[16:17]
	v_or_b32_e32 v11, v2, v10
.LBB4_505:                              ;   in Loop: Header=BB4_381 Depth=2
	s_or_b64 exec, exec, s[50:51]
.LBB4_506:                              ;   in Loop: Header=BB4_381 Depth=2
	s_or_b64 exec, exec, s[48:49]
                                        ; implicit-def: $vgpr2
.LBB4_507:                              ;   in Loop: Header=BB4_381 Depth=2
	s_andn2_saveexec_b64 s[16:17], s[46:47]
; %bb.508:                              ;   in Loop: Header=BB4_381 Depth=2
	v_or_b32_sdwa v2, v2, s68 dst_sel:DWORD dst_unused:UNUSED_PAD src0_sel:BYTE_3 src1_sel:DWORD
	v_cmp_eq_u64_e32 vcc, 0, v[40:41]
	v_cndmask_b32_e32 v11, v2, v11, vcc
; %bb.509:                              ;   in Loop: Header=BB4_381 Depth=2
	s_or_b64 exec, exec, s[16:17]
	v_cmp_ne_u16_sdwa vcc, v4, v41 src0_sel:BYTE_0 src1_sel:DWORD
	v_mov_b32_e32 v2, 0
	v_mov_b32_e32 v3, 0
	s_and_saveexec_b64 s[16:17], vcc
	s_cbranch_execz .LBB4_517
; %bb.510:                              ;   in Loop: Header=BB4_381 Depth=2
	v_cmp_ne_u16_sdwa vcc, sext(v4), s63 src0_sel:BYTE_0 src1_sel:DWORD
	v_bfrev_b32_e32 v3, 1
	s_and_saveexec_b64 s[46:47], vcc
	s_cbranch_execz .LBB4_516
; %bb.511:                              ;   in Loop: Header=BB4_381 Depth=2
	v_and_b32_e32 v3, 0x7c, v4
	v_and_b32_e32 v10, 3, v4
	v_cmp_ne_u32_e32 vcc, s64, v3
                                        ; implicit-def: $vgpr3
	s_and_saveexec_b64 s[48:49], vcc
	s_xor_b64 s[48:49], exec, s[48:49]
	s_cbranch_execz .LBB4_513
; %bb.512:                              ;   in Loop: Header=BB4_381 Depth=2
	v_ffbh_u32_e32 v16, v10
	v_min_u32_e32 v22, 32, v16
	v_bfe_u32 v3, v4, 2, 5
	v_subrev_u32_e32 v16, 29, v22
	v_lshlrev_b64 v[16:17], v16, v[4:5]
	v_sub_u32_e32 v5, 30, v22
	v_cmp_eq_u32_e32 vcc, 0, v3
	v_and_b32_e32 v16, 3, v16
	v_cndmask_b32_e32 v3, v3, v5, vcc
	v_cndmask_b32_e32 v5, v10, v16, vcc
	v_lshlrev_b32_e32 v10, 24, v4
	v_lshl_add_u32 v3, v3, 23, v25
	v_and_or_b32 v3, v10, s65, v3
	v_lshl_or_b32 v3, v5, 21, v3
                                        ; implicit-def: $vgpr10
.LBB4_513:                              ;   in Loop: Header=BB4_381 Depth=2
	s_andn2_saveexec_b64 s[48:49], s[48:49]
; %bb.514:                              ;   in Loop: Header=BB4_381 Depth=2
	v_cmp_gt_i16_sdwa vcc, sext(v4), v30 src0_sel:BYTE_0 src1_sel:DWORD
	v_cndmask_b32_e32 v3, v47, v6, vcc
	v_cmp_eq_u32_e32 vcc, 0, v10
	v_cndmask_b32_e32 v3, v7, v3, vcc
; %bb.515:                              ;   in Loop: Header=BB4_381 Depth=2
	s_or_b64 exec, exec, s[48:49]
.LBB4_516:                              ;   in Loop: Header=BB4_381 Depth=2
	s_or_b64 exec, exec, s[46:47]
.LBB4_517:                              ;   in Loop: Header=BB4_381 Depth=2
	s_or_b64 exec, exec, s[16:17]
	v_alignbit_b32 v40, v31, v32, v27
	v_cmp_ne_u16_sdwa vcc, v40, v41 src0_sel:BYTE_0 src1_sel:DWORD
	s_and_saveexec_b64 s[16:17], vcc
	s_cbranch_execz .LBB4_525
; %bb.518:                              ;   in Loop: Header=BB4_381 Depth=2
	v_cmp_ne_u16_sdwa vcc, sext(v40), s63 src0_sel:BYTE_0 src1_sel:DWORD
	v_bfrev_b32_e32 v2, 1
	s_and_saveexec_b64 s[46:47], vcc
	s_cbranch_execz .LBB4_524
; %bb.519:                              ;   in Loop: Header=BB4_381 Depth=2
	v_and_b32_e32 v2, 0x7c, v40
	v_and_b32_e32 v5, 3, v40
	v_cmp_ne_u32_e32 vcc, s64, v2
                                        ; implicit-def: $vgpr2
	s_and_saveexec_b64 s[48:49], vcc
	s_xor_b64 s[48:49], exec, s[48:49]
	s_cbranch_execz .LBB4_521
; %bb.520:                              ;   in Loop: Header=BB4_381 Depth=2
	v_ffbh_u32_e32 v10, v5
	v_bfe_u32 v2, v40, 2, 5
	v_min_u32_e32 v10, 32, v10
	v_subrev_u32_e32 v16, 29, v10
	v_sub_u32_e32 v10, 30, v10
	v_cmp_eq_u32_e32 vcc, 0, v2
	v_lshlrev_b64 v[16:17], v16, v[40:41]
	v_cndmask_b32_e32 v2, v2, v10, vcc
	v_and_b32_e32 v16, 3, v16
	v_lshlrev_b32_e32 v10, 24, v40
	v_lshl_add_u32 v2, v2, 23, v25
	v_cndmask_b32_e32 v5, v5, v16, vcc
	v_and_or_b32 v2, v10, s65, v2
	v_lshl_or_b32 v2, v5, 21, v2
                                        ; implicit-def: $vgpr5
.LBB4_521:                              ;   in Loop: Header=BB4_381 Depth=2
	s_andn2_saveexec_b64 s[48:49], s[48:49]
; %bb.522:                              ;   in Loop: Header=BB4_381 Depth=2
	v_cmp_gt_i16_sdwa vcc, sext(v40), v30 src0_sel:BYTE_0 src1_sel:DWORD
	v_cndmask_b32_e32 v2, v47, v6, vcc
	v_cmp_eq_u32_e32 vcc, 0, v5
	v_cndmask_b32_e32 v2, v7, v2, vcc
; %bb.523:                              ;   in Loop: Header=BB4_381 Depth=2
	s_or_b64 exec, exec, s[48:49]
.LBB4_524:                              ;   in Loop: Header=BB4_381 Depth=2
	s_or_b64 exec, exec, s[46:47]
.LBB4_525:                              ;   in Loop: Header=BB4_381 Depth=2
	s_or_b64 exec, exec, s[16:17]
	v_mul_f32_e32 v27, v3, v2
	v_and_b32_sdwa v10, v27, s66 dst_sel:DWORD dst_unused:UNUSED_PAD src0_sel:BYTE_3 src1_sel:DWORD
	v_and_b32_e32 v16, 0x7f800000, v27
	v_mov_b32_e32 v17, v41
	v_and_b32_e32 v2, 0x7fffff, v27
	v_mov_b32_e32 v3, v41
	v_or_b32_e32 v5, 0x7b, v10
	v_cmp_ne_u64_e32 vcc, s[38:39], v[16:17]
	s_and_saveexec_b64 s[16:17], vcc
	s_xor_b64 s[46:47], exec, s[16:17]
	s_cbranch_execz .LBB4_535
; %bb.526:                              ;   in Loop: Header=BB4_381 Depth=2
	v_and_b32_e32 v16, 0x7fffffff, v27
	v_mov_b32_e32 v17, v41
	v_cmp_gt_u64_e32 vcc, s[40:41], v[16:17]
	s_and_saveexec_b64 s[48:49], vcc
	s_cbranch_execz .LBB4_534
; %bb.527:                              ;   in Loop: Header=BB4_381 Depth=2
	v_cmp_ne_u32_e32 vcc, 0, v27
	v_mov_b32_e32 v5, 0
	s_and_saveexec_b64 s[50:51], vcc
	s_cbranch_execz .LBB4_533
; %bb.528:                              ;   in Loop: Header=BB4_381 Depth=2
	v_bfe_u32 v5, v27, 23, 8
	v_sub_u32_e32 v17, 0x71, v5
	v_cmp_gt_u32_e32 vcc, s67, v5
	v_cndmask_b32_e32 v17, 0, v17, vcc
	v_cmp_eq_u32_e32 vcc, 0, v5
	v_add_u32_e32 v16, 0xffffff81, v5
	v_cndmask_b32_e32 v23, v17, v55, vcc
	v_cndmask_b32_e32 v5, v16, v54, vcc
	v_add_u32_e32 v16, 21, v23
	v_or_b32_e32 v22, 0x800000, v2
	v_lshlrev_b64 v[16:17], v16, -1
	v_cndmask_b32_e32 v2, v22, v2, vcc
	v_not_b32_e32 v16, v16
	v_and_b32_e32 v16, v2, v16
	v_add_u32_e32 v22, 20, v23
	v_lshrrev_b64 v[2:3], v23, v[2:3]
	v_not_b32_e32 v17, v17
	v_lshlrev_b64 v[28:29], v22, 1
	v_lshrrev_b32_e32 v22, 23, v2
	v_and_b32_e32 v17, 0, v17
	v_add3_u32 v23, v23, v5, v22
	v_bfe_u32 v5, v2, 21, 1
	v_add_u32_e32 v5, -1, v5
	v_cmp_eq_u64_e32 vcc, v[16:17], v[28:29]
	v_cndmask_b32_e32 v5, 0, v5, vcc
	v_add_u32_e32 v5, v5, v2
	v_and_b32_e32 v5, 0x1fffff, v5
	v_add_co_u32_e32 v2, vcc, v5, v2
	v_add_u32_e32 v22, 14, v23
	v_addc_co_u32_e32 v3, vcc, 0, v3, vcc
	v_cmp_ne_u32_e32 vcc, 0, v22
                                        ; implicit-def: $vgpr5
	s_and_saveexec_b64 s[16:17], vcc
	s_xor_b64 s[16:17], exec, s[16:17]
; %bb.529:                              ;   in Loop: Header=BB4_381 Depth=2
	v_cmp_lt_u64_e32 vcc, s[42:43], v[2:3]
	v_add_u32_e32 v5, 15, v23
	v_cndmask_b32_e64 v16, 0, 1, vcc
	v_cndmask_b32_e32 v5, v22, v5, vcc
	v_lshrrev_b64 v[2:3], v16, v[2:3]
; %bb.530:                              ;   in Loop: Header=BB4_381 Depth=2
	s_andn2_saveexec_b64 s[16:17], s[16:17]
; %bb.531:                              ;   in Loop: Header=BB4_381 Depth=2
	v_bfe_u32 v5, v2, 23, 1
; %bb.532:                              ;   in Loop: Header=BB4_381 Depth=2
	s_or_b64 exec, exec, s[16:17]
	v_lshrrev_b64 v[2:3], 21, v[2:3]
	v_cmp_gt_i32_e32 vcc, 32, v5
	v_cndmask_b32_e32 v3, 0, v3, vcc
	v_cndmask_b32_e32 v2, 3, v2, vcc
	v_cmp_eq_u64_e64 s[16:17], 0, v[2:3]
	v_min_i32_e32 v3, 31, v5
	v_cmp_eq_u32_e32 vcc, 0, v5
	v_lshlrev_b32_e32 v3, 2, v3
	v_and_or_b32 v2, v2, 3, v3
	s_and_b64 s[16:17], vcc, s[16:17]
	v_cndmask_b32_e64 v2, v2, 0, s[16:17]
	v_or_b32_e32 v5, v2, v10
.LBB4_533:                              ;   in Loop: Header=BB4_381 Depth=2
	s_or_b64 exec, exec, s[50:51]
.LBB4_534:                              ;   in Loop: Header=BB4_381 Depth=2
	s_or_b64 exec, exec, s[48:49]
                                        ; implicit-def: $vgpr27
                                        ; implicit-def: $vgpr2_vgpr3
.LBB4_535:                              ;   in Loop: Header=BB4_381 Depth=2
	s_andn2_saveexec_b64 s[16:17], s[46:47]
; %bb.536:                              ;   in Loop: Header=BB4_381 Depth=2
	v_or_b32_sdwa v10, v27, s68 dst_sel:DWORD dst_unused:UNUSED_PAD src0_sel:BYTE_3 src1_sel:DWORD
	v_cmp_eq_u64_e32 vcc, 0, v[2:3]
	v_cndmask_b32_e32 v5, v10, v5, vcc
; %bb.537:                              ;   in Loop: Header=BB4_381 Depth=2
	s_or_b64 exec, exec, s[16:17]
	v_lshrrev_b16_e32 v2, 8, v4
	v_cmp_ne_u16_e32 vcc, 0, v2
	v_mov_b32_e32 v10, 0
	v_mov_b32_e32 v27, 0
	s_and_saveexec_b64 s[16:17], vcc
	s_cbranch_execz .LBB4_545
; %bb.538:                              ;   in Loop: Header=BB4_381 Depth=2
	v_cmp_ne_u16_e32 vcc, s66, v2
	v_bfrev_b32_e32 v27, 1
	s_and_saveexec_b64 s[46:47], vcc
	s_cbranch_execz .LBB4_544
; %bb.539:                              ;   in Loop: Header=BB4_381 Depth=2
	v_and_b32_e32 v3, 0x7c, v2
	v_and_b32_e32 v22, 3, v2
	v_cmp_ne_u32_e32 vcc, s64, v3
                                        ; implicit-def: $vgpr27
	s_and_saveexec_b64 s[48:49], vcc
	s_xor_b64 s[48:49], exec, s[48:49]
	s_cbranch_execz .LBB4_541
; %bb.540:                              ;   in Loop: Header=BB4_381 Depth=2
	v_ffbh_u32_e32 v17, v22
	v_min_u32_e32 v17, 32, v17
	v_mov_b32_e32 v3, v41
	v_subrev_u32_e32 v23, 29, v17
	v_bfe_u32 v16, v2, 2, 5
	v_lshlrev_b64 v[2:3], v23, v[2:3]
	v_sub_u32_e32 v3, 30, v17
	v_cmp_eq_u32_e32 vcc, 0, v16
	v_cndmask_b32_e32 v3, v16, v3, vcc
	v_and_b32_e32 v2, 3, v2
	v_lshlrev_b32_e32 v16, 16, v4
	v_lshl_add_u32 v3, v3, 23, v25
	v_cndmask_b32_e32 v2, v22, v2, vcc
	v_and_or_b32 v3, v16, s65, v3
	v_lshl_or_b32 v27, v2, 21, v3
                                        ; implicit-def: $vgpr22
.LBB4_541:                              ;   in Loop: Header=BB4_381 Depth=2
	s_andn2_saveexec_b64 s[48:49], s[48:49]
; %bb.542:                              ;   in Loop: Header=BB4_381 Depth=2
	v_cmp_lt_i16_e32 vcc, -1, v4
	v_cndmask_b32_e32 v2, v47, v6, vcc
	v_cmp_eq_u32_e32 vcc, 0, v22
	v_cndmask_b32_e32 v27, v7, v2, vcc
; %bb.543:                              ;   in Loop: Header=BB4_381 Depth=2
	s_or_b64 exec, exec, s[48:49]
.LBB4_544:                              ;   in Loop: Header=BB4_381 Depth=2
	s_or_b64 exec, exec, s[46:47]
.LBB4_545:                              ;   in Loop: Header=BB4_381 Depth=2
	s_or_b64 exec, exec, s[16:17]
	v_lshrrev_b16_e32 v2, 8, v40
	v_cmp_ne_u16_e32 vcc, 0, v2
	s_and_saveexec_b64 s[16:17], vcc
	s_cbranch_execz .LBB4_553
; %bb.546:                              ;   in Loop: Header=BB4_381 Depth=2
	v_cmp_ne_u16_e32 vcc, s66, v2
	v_bfrev_b32_e32 v10, 1
	s_and_saveexec_b64 s[46:47], vcc
	s_cbranch_execz .LBB4_552
; %bb.547:                              ;   in Loop: Header=BB4_381 Depth=2
	v_and_b32_e32 v3, 0x7c, v2
	v_and_b32_e32 v22, 3, v2
	v_cmp_ne_u32_e32 vcc, s64, v3
                                        ; implicit-def: $vgpr10
	s_and_saveexec_b64 s[48:49], vcc
	s_xor_b64 s[48:49], exec, s[48:49]
	s_cbranch_execz .LBB4_549
; %bb.548:                              ;   in Loop: Header=BB4_381 Depth=2
	v_ffbh_u32_e32 v16, v22
	v_min_u32_e32 v16, 32, v16
	v_mov_b32_e32 v3, v41
	v_subrev_u32_e32 v17, 29, v16
	v_bfe_u32 v10, v2, 2, 5
	v_lshlrev_b64 v[2:3], v17, v[2:3]
	v_sub_u32_e32 v3, 30, v16
	v_cmp_eq_u32_e32 vcc, 0, v10
	v_cndmask_b32_e32 v3, v10, v3, vcc
	v_and_b32_e32 v2, 3, v2
	v_lshlrev_b32_e32 v10, 16, v40
	v_lshl_add_u32 v3, v3, 23, v25
	v_cndmask_b32_e32 v2, v22, v2, vcc
	v_and_or_b32 v3, v10, s65, v3
	v_lshl_or_b32 v10, v2, 21, v3
                                        ; implicit-def: $vgpr22
.LBB4_549:                              ;   in Loop: Header=BB4_381 Depth=2
	s_andn2_saveexec_b64 s[48:49], s[48:49]
; %bb.550:                              ;   in Loop: Header=BB4_381 Depth=2
	v_cmp_lt_i16_e32 vcc, -1, v40
	v_cndmask_b32_e32 v2, v47, v6, vcc
	v_cmp_eq_u32_e32 vcc, 0, v22
	v_cndmask_b32_e32 v10, v7, v2, vcc
; %bb.551:                              ;   in Loop: Header=BB4_381 Depth=2
	s_or_b64 exec, exec, s[48:49]
.LBB4_552:                              ;   in Loop: Header=BB4_381 Depth=2
	s_or_b64 exec, exec, s[46:47]
.LBB4_553:                              ;   in Loop: Header=BB4_381 Depth=2
	s_or_b64 exec, exec, s[16:17]
	v_mul_f32_e32 v28, v27, v10
	v_and_b32_sdwa v10, v28, s66 dst_sel:DWORD dst_unused:UNUSED_PAD src0_sel:BYTE_3 src1_sel:DWORD
	v_and_b32_e32 v16, 0x7f800000, v28
	v_mov_b32_e32 v17, v41
	v_and_b32_e32 v2, 0x7fffff, v28
	v_mov_b32_e32 v3, v41
	v_or_b32_e32 v27, 0x7b, v10
	v_cmp_ne_u64_e32 vcc, s[38:39], v[16:17]
	s_and_saveexec_b64 s[16:17], vcc
	s_xor_b64 s[46:47], exec, s[16:17]
	s_cbranch_execz .LBB4_563
; %bb.554:                              ;   in Loop: Header=BB4_381 Depth=2
	v_and_b32_e32 v16, 0x7fffffff, v28
	v_mov_b32_e32 v17, v41
	v_cmp_gt_u64_e32 vcc, s[40:41], v[16:17]
	s_and_saveexec_b64 s[48:49], vcc
	s_cbranch_execz .LBB4_562
; %bb.555:                              ;   in Loop: Header=BB4_381 Depth=2
	v_cmp_ne_u32_e32 vcc, 0, v28
	v_mov_b32_e32 v27, 0
	s_and_saveexec_b64 s[50:51], vcc
	s_cbranch_execz .LBB4_561
; %bb.556:                              ;   in Loop: Header=BB4_381 Depth=2
	v_bfe_u32 v16, v28, 23, 8
	v_sub_u32_e32 v22, 0x71, v16
	v_cmp_gt_u32_e32 vcc, s67, v16
	v_cndmask_b32_e32 v22, 0, v22, vcc
	v_cmp_eq_u32_e32 vcc, 0, v16
	v_cndmask_b32_e32 v22, v22, v55, vcc
	v_add_u32_e32 v17, 0xffffff81, v16
	v_add_u32_e32 v16, 21, v22
	v_or_b32_e32 v23, 0x800000, v2
	v_cndmask_b32_e32 v27, v17, v54, vcc
	v_lshlrev_b64 v[16:17], v16, -1
	v_cndmask_b32_e32 v2, v23, v2, vcc
	v_not_b32_e32 v16, v16
	v_and_b32_e32 v16, v2, v16
	v_add_u32_e32 v23, 20, v22
	v_lshrrev_b64 v[2:3], v22, v[2:3]
	v_not_b32_e32 v17, v17
	v_lshlrev_b64 v[28:29], v23, 1
	v_lshrrev_b32_e32 v23, 23, v2
	v_and_b32_e32 v17, 0, v17
	v_add3_u32 v23, v22, v27, v23
	v_bfe_u32 v27, v2, 21, 1
	v_add_u32_e32 v27, -1, v27
	v_cmp_eq_u64_e32 vcc, v[16:17], v[28:29]
	v_cndmask_b32_e32 v16, 0, v27, vcc
	v_add_u32_e32 v16, v16, v2
	v_and_b32_e32 v16, 0x1fffff, v16
	v_add_co_u32_e32 v2, vcc, v16, v2
	v_add_u32_e32 v22, 14, v23
	v_addc_co_u32_e32 v3, vcc, 0, v3, vcc
	v_cmp_ne_u32_e32 vcc, 0, v22
                                        ; implicit-def: $vgpr27
	s_and_saveexec_b64 s[16:17], vcc
	s_xor_b64 s[16:17], exec, s[16:17]
; %bb.557:                              ;   in Loop: Header=BB4_381 Depth=2
	v_add_u32_e32 v16, 15, v23
	v_cmp_lt_u64_e32 vcc, s[42:43], v[2:3]
	v_cndmask_b32_e32 v27, v22, v16, vcc
	v_cndmask_b32_e64 v16, 0, 1, vcc
	v_lshrrev_b64 v[2:3], v16, v[2:3]
; %bb.558:                              ;   in Loop: Header=BB4_381 Depth=2
	s_andn2_saveexec_b64 s[16:17], s[16:17]
; %bb.559:                              ;   in Loop: Header=BB4_381 Depth=2
	v_bfe_u32 v27, v2, 23, 1
; %bb.560:                              ;   in Loop: Header=BB4_381 Depth=2
	s_or_b64 exec, exec, s[16:17]
	v_lshrrev_b64 v[2:3], 21, v[2:3]
	v_cmp_gt_i32_e32 vcc, 32, v27
	v_cndmask_b32_e32 v3, 0, v3, vcc
	v_cndmask_b32_e32 v2, 3, v2, vcc
	v_cmp_eq_u64_e64 s[16:17], 0, v[2:3]
	v_min_i32_e32 v3, 31, v27
	v_cmp_eq_u32_e32 vcc, 0, v27
	v_lshlrev_b32_e32 v3, 2, v3
	v_and_or_b32 v2, v2, 3, v3
	s_and_b64 s[16:17], vcc, s[16:17]
	v_cndmask_b32_e64 v2, v2, 0, s[16:17]
	v_or_b32_e32 v27, v2, v10
.LBB4_561:                              ;   in Loop: Header=BB4_381 Depth=2
	s_or_b64 exec, exec, s[50:51]
.LBB4_562:                              ;   in Loop: Header=BB4_381 Depth=2
	s_or_b64 exec, exec, s[48:49]
                                        ; implicit-def: $vgpr28
                                        ; implicit-def: $vgpr2_vgpr3
.LBB4_563:                              ;   in Loop: Header=BB4_381 Depth=2
	s_andn2_saveexec_b64 s[16:17], s[46:47]
; %bb.564:                              ;   in Loop: Header=BB4_381 Depth=2
	v_or_b32_sdwa v10, v28, s68 dst_sel:DWORD dst_unused:UNUSED_PAD src0_sel:BYTE_3 src1_sel:DWORD
	v_cmp_eq_u64_e32 vcc, 0, v[2:3]
	v_cndmask_b32_e32 v27, v10, v27, vcc
; %bb.565:                              ;   in Loop: Header=BB4_381 Depth=2
	s_or_b64 exec, exec, s[16:17]
	v_lshrrev_b32_e32 v2, 16, v4
	v_cmp_ne_u16_sdwa vcc, v2, v41 src0_sel:BYTE_0 src1_sel:DWORD
	v_mov_b32_e32 v3, 0
	v_mov_b32_e32 v10, 0
	s_and_saveexec_b64 s[16:17], vcc
	s_cbranch_execz .LBB4_573
; %bb.566:                              ;   in Loop: Header=BB4_381 Depth=2
	v_cmp_ne_u16_sdwa vcc, v2, s66 src0_sel:BYTE_0 src1_sel:DWORD
	v_bfrev_b32_e32 v10, 1
	s_and_saveexec_b64 s[46:47], vcc
	s_cbranch_execz .LBB4_572
; %bb.567:                              ;   in Loop: Header=BB4_381 Depth=2
	v_and_b32_e32 v10, 0x7c0000, v4
	v_bfe_u32 v28, v4, 16, 2
	v_cmp_ne_u32_e32 vcc, s69, v10
                                        ; implicit-def: $vgpr10
	s_and_saveexec_b64 s[48:49], vcc
	s_xor_b64 s[48:49], exec, s[48:49]
	s_cbranch_execz .LBB4_569
; %bb.568:                              ;   in Loop: Header=BB4_381 Depth=2
	v_ffbh_u32_e32 v16, v28
	v_min_u32_e32 v22, 32, v16
	v_bfe_u32 v10, v4, 18, 5
	v_subrev_u32_e32 v16, 29, v22
	v_lshlrev_b64 v[16:17], v16, v[2:3]
	v_sub_u32_e32 v2, 30, v22
	v_cmp_eq_u32_e32 vcc, 0, v10
	v_and_b32_e32 v16, 3, v16
	v_cndmask_b32_e32 v2, v10, v2, vcc
	v_cndmask_b32_e32 v10, v28, v16, vcc
	v_lshlrev_b32_e32 v16, 8, v4
	v_lshl_add_u32 v2, v2, 23, v25
	v_and_or_b32 v2, v16, s65, v2
	v_lshl_or_b32 v10, v10, 21, v2
                                        ; implicit-def: $vgpr28
                                        ; implicit-def: $vgpr2
.LBB4_569:                              ;   in Loop: Header=BB4_381 Depth=2
	s_andn2_saveexec_b64 s[48:49], s[48:49]
; %bb.570:                              ;   in Loop: Header=BB4_381 Depth=2
	v_cmp_gt_i16_sdwa vcc, sext(v2), v30 src0_sel:BYTE_0 src1_sel:DWORD
	v_cndmask_b32_e32 v2, v47, v6, vcc
	v_cmp_eq_u32_e32 vcc, 0, v28
	v_cndmask_b32_e32 v10, v7, v2, vcc
; %bb.571:                              ;   in Loop: Header=BB4_381 Depth=2
	s_or_b64 exec, exec, s[48:49]
.LBB4_572:                              ;   in Loop: Header=BB4_381 Depth=2
	s_or_b64 exec, exec, s[46:47]
.LBB4_573:                              ;   in Loop: Header=BB4_381 Depth=2
	s_or_b64 exec, exec, s[16:17]
	v_and_b32_sdwa v22, v40, s62 dst_sel:DWORD dst_unused:UNUSED_PAD src0_sel:WORD_1 src1_sel:DWORD
	v_lshrrev_b32_e32 v2, 16, v40
	v_cmp_ne_u16_e32 vcc, 0, v22
	s_and_saveexec_b64 s[16:17], vcc
	s_cbranch_execz .LBB4_581
; %bb.574:                              ;   in Loop: Header=BB4_381 Depth=2
	v_cmp_ne_u16_e32 vcc, s66, v22
	v_bfrev_b32_e32 v3, 1
	s_and_saveexec_b64 s[46:47], vcc
	s_cbranch_execz .LBB4_580
; %bb.575:                              ;   in Loop: Header=BB4_381 Depth=2
	v_and_b32_e32 v3, 0x7c0000, v40
	v_bfe_u32 v28, v40, 16, 2
	v_cmp_ne_u32_e32 vcc, s69, v3
                                        ; implicit-def: $vgpr3
	s_and_saveexec_b64 s[48:49], vcc
	s_xor_b64 s[48:49], exec, s[48:49]
	s_cbranch_execz .LBB4_577
; %bb.576:                              ;   in Loop: Header=BB4_381 Depth=2
	v_ffbh_u32_e32 v3, v28
	v_min_u32_e32 v17, 32, v3
	v_subrev_u32_e32 v3, 29, v17
	v_bfe_u32 v16, v40, 18, 5
	v_lshlrev_b64 v[2:3], v3, v[2:3]
	v_sub_u32_e32 v3, 30, v17
	v_cmp_eq_u32_e32 vcc, 0, v16
	v_cndmask_b32_e32 v3, v16, v3, vcc
	v_and_b32_e32 v2, 3, v2
	v_lshlrev_b32_e32 v16, 8, v40
	v_lshl_add_u32 v3, v3, 23, v25
	v_cndmask_b32_e32 v2, v28, v2, vcc
	v_and_or_b32 v3, v16, s65, v3
	v_lshl_or_b32 v3, v2, 21, v3
                                        ; implicit-def: $vgpr28
                                        ; implicit-def: $vgpr2
.LBB4_577:                              ;   in Loop: Header=BB4_381 Depth=2
	s_andn2_saveexec_b64 s[48:49], s[48:49]
; %bb.578:                              ;   in Loop: Header=BB4_381 Depth=2
	v_cmp_gt_i16_sdwa vcc, sext(v2), v30 src0_sel:BYTE_0 src1_sel:DWORD
	v_cndmask_b32_e32 v2, v47, v6, vcc
	v_cmp_eq_u32_e32 vcc, 0, v28
	v_cndmask_b32_e32 v3, v7, v2, vcc
; %bb.579:                              ;   in Loop: Header=BB4_381 Depth=2
	s_or_b64 exec, exec, s[48:49]
.LBB4_580:                              ;   in Loop: Header=BB4_381 Depth=2
	s_or_b64 exec, exec, s[46:47]
.LBB4_581:                              ;   in Loop: Header=BB4_381 Depth=2
	s_or_b64 exec, exec, s[16:17]
	v_mul_f32_e32 v29, v10, v3
	v_and_b32_sdwa v10, v29, s66 dst_sel:DWORD dst_unused:UNUSED_PAD src0_sel:BYTE_3 src1_sel:DWORD
	v_and_b32_e32 v16, 0x7f800000, v29
	v_mov_b32_e32 v17, v41
	v_and_b32_e32 v2, 0x7fffff, v29
	v_mov_b32_e32 v3, v41
	v_or_b32_e32 v28, 0x7b, v10
	v_cmp_ne_u64_e32 vcc, s[38:39], v[16:17]
	s_and_saveexec_b64 s[16:17], vcc
	s_xor_b64 s[46:47], exec, s[16:17]
	s_cbranch_execz .LBB4_591
; %bb.582:                              ;   in Loop: Header=BB4_381 Depth=2
	v_and_b32_e32 v16, 0x7fffffff, v29
	v_mov_b32_e32 v17, v41
	v_cmp_gt_u64_e32 vcc, s[40:41], v[16:17]
	s_and_saveexec_b64 s[48:49], vcc
	s_cbranch_execz .LBB4_590
; %bb.583:                              ;   in Loop: Header=BB4_381 Depth=2
	v_cmp_ne_u32_e32 vcc, 0, v29
	v_mov_b32_e32 v28, 0
	s_and_saveexec_b64 s[50:51], vcc
	s_cbranch_execz .LBB4_589
; %bb.584:                              ;   in Loop: Header=BB4_381 Depth=2
	v_bfe_u32 v16, v29, 23, 8
	v_sub_u32_e32 v22, 0x71, v16
	v_cmp_gt_u32_e32 vcc, s67, v16
	v_cndmask_b32_e32 v22, 0, v22, vcc
	v_cmp_eq_u32_e32 vcc, 0, v16
	v_cndmask_b32_e32 v22, v22, v55, vcc
	v_add_u32_e32 v17, 0xffffff81, v16
	v_add_u32_e32 v16, 21, v22
	v_or_b32_e32 v23, 0x800000, v2
	v_cndmask_b32_e32 v31, v17, v54, vcc
	v_lshlrev_b64 v[16:17], v16, -1
	v_cndmask_b32_e32 v2, v23, v2, vcc
	v_not_b32_e32 v16, v16
	v_and_b32_e32 v16, v2, v16
	v_add_u32_e32 v23, 20, v22
	v_lshrrev_b64 v[2:3], v22, v[2:3]
	v_not_b32_e32 v17, v17
	v_lshlrev_b64 v[28:29], v23, 1
	v_lshrrev_b32_e32 v23, 23, v2
	v_and_b32_e32 v17, 0, v17
	v_add3_u32 v23, v22, v31, v23
	v_bfe_u32 v31, v2, 21, 1
	v_add_u32_e32 v31, -1, v31
	v_cmp_eq_u64_e32 vcc, v[16:17], v[28:29]
	v_cndmask_b32_e32 v16, 0, v31, vcc
	v_add_u32_e32 v16, v16, v2
	v_and_b32_e32 v16, 0x1fffff, v16
	v_add_co_u32_e32 v2, vcc, v16, v2
	v_add_u32_e32 v22, 14, v23
	v_addc_co_u32_e32 v3, vcc, 0, v3, vcc
	v_cmp_ne_u32_e32 vcc, 0, v22
                                        ; implicit-def: $vgpr28
	s_and_saveexec_b64 s[16:17], vcc
	s_xor_b64 s[16:17], exec, s[16:17]
; %bb.585:                              ;   in Loop: Header=BB4_381 Depth=2
	v_add_u32_e32 v16, 15, v23
	v_cmp_lt_u64_e32 vcc, s[42:43], v[2:3]
	v_cndmask_b32_e32 v28, v22, v16, vcc
	v_cndmask_b32_e64 v16, 0, 1, vcc
	v_lshrrev_b64 v[2:3], v16, v[2:3]
; %bb.586:                              ;   in Loop: Header=BB4_381 Depth=2
	s_andn2_saveexec_b64 s[16:17], s[16:17]
; %bb.587:                              ;   in Loop: Header=BB4_381 Depth=2
	v_bfe_u32 v28, v2, 23, 1
; %bb.588:                              ;   in Loop: Header=BB4_381 Depth=2
	s_or_b64 exec, exec, s[16:17]
	v_lshrrev_b64 v[2:3], 21, v[2:3]
	v_cmp_gt_i32_e32 vcc, 32, v28
	v_cndmask_b32_e32 v3, 0, v3, vcc
	v_cndmask_b32_e32 v2, 3, v2, vcc
	v_cmp_eq_u64_e64 s[16:17], 0, v[2:3]
	v_min_i32_e32 v3, 31, v28
	v_lshlrev_b32_e32 v3, 2, v3
	v_cmp_eq_u32_e32 vcc, 0, v28
	v_and_b32_e32 v3, 0xfc, v3
	v_and_or_b32 v2, v2, 3, v3
	s_and_b64 s[16:17], vcc, s[16:17]
	v_cndmask_b32_e64 v2, v2, 0, s[16:17]
	v_or_b32_e32 v28, v2, v10
.LBB4_589:                              ;   in Loop: Header=BB4_381 Depth=2
	s_or_b64 exec, exec, s[50:51]
.LBB4_590:                              ;   in Loop: Header=BB4_381 Depth=2
	s_or_b64 exec, exec, s[48:49]
                                        ; implicit-def: $vgpr29
                                        ; implicit-def: $vgpr2_vgpr3
.LBB4_591:                              ;   in Loop: Header=BB4_381 Depth=2
	s_andn2_saveexec_b64 s[16:17], s[46:47]
; %bb.592:                              ;   in Loop: Header=BB4_381 Depth=2
	v_or_b32_sdwa v10, v29, s68 dst_sel:DWORD dst_unused:UNUSED_PAD src0_sel:BYTE_3 src1_sel:DWORD
	v_cmp_eq_u64_e32 vcc, 0, v[2:3]
	v_cndmask_b32_e32 v28, v10, v28, vcc
; %bb.593:                              ;   in Loop: Header=BB4_381 Depth=2
	s_or_b64 exec, exec, s[16:17]
	v_mov_b32_e32 v2, v41
	v_mov_b32_e32 v3, v4
	v_cmp_lt_u64_e32 vcc, s[36:37], v[2:3]
	v_mov_b32_e32 v29, 0
	v_mov_b32_e32 v31, 0
	s_and_saveexec_b64 s[16:17], vcc
	s_cbranch_execz .LBB4_601
; %bb.594:                              ;   in Loop: Header=BB4_381 Depth=2
	v_lshrrev_b32_e32 v10, 24, v4
	v_cmp_ne_u32_e32 vcc, s66, v10
	v_bfrev_b32_e32 v31, 1
	s_and_saveexec_b64 s[46:47], vcc
	s_cbranch_execz .LBB4_600
; %bb.595:                              ;   in Loop: Header=BB4_381 Depth=2
	v_and_b32_e32 v16, 0x7c000000, v4
	v_bfe_u32 v32, v4, 24, 2
	v_cmp_ne_u32_e32 vcc, s70, v16
                                        ; implicit-def: $vgpr31
	s_and_saveexec_b64 s[48:49], vcc
	s_xor_b64 s[48:49], exec, s[48:49]
	s_cbranch_execz .LBB4_597
; %bb.596:                              ;   in Loop: Header=BB4_381 Depth=2
	v_ffbh_u32_e32 v2, v32
	v_min_u32_e32 v17, 32, v2
	v_subrev_u32_e32 v2, 29, v17
	v_bfe_u32 v16, v4, 26, 5
	v_lshlrev_b64 v[2:3], v2, v[10:11]
	v_sub_u32_e32 v3, 30, v17
	v_cmp_eq_u32_e32 vcc, 0, v16
	v_cndmask_b32_e32 v3, v16, v3, vcc
	v_and_b32_e32 v2, 3, v2
	v_lshl_add_u32 v3, v3, 23, v25
	v_cndmask_b32_e32 v2, v32, v2, vcc
	v_and_or_b32 v3, v4, s65, v3
	v_lshl_or_b32 v31, v2, 21, v3
                                        ; implicit-def: $vgpr32
                                        ; implicit-def: $vgpr2_vgpr3
.LBB4_597:                              ;   in Loop: Header=BB4_381 Depth=2
	s_andn2_saveexec_b64 s[48:49], s[48:49]
; %bb.598:                              ;   in Loop: Header=BB4_381 Depth=2
	v_cmp_lt_i64_e32 vcc, -1, v[2:3]
	v_cndmask_b32_e32 v2, v47, v6, vcc
	v_cmp_eq_u32_e32 vcc, 0, v32
	v_cndmask_b32_e32 v31, v7, v2, vcc
; %bb.599:                              ;   in Loop: Header=BB4_381 Depth=2
	s_or_b64 exec, exec, s[48:49]
.LBB4_600:                              ;   in Loop: Header=BB4_381 Depth=2
	s_or_b64 exec, exec, s[46:47]
.LBB4_601:                              ;   in Loop: Header=BB4_381 Depth=2
	s_or_b64 exec, exec, s[16:17]
	v_cmp_lt_u32_e32 vcc, s37, v40
	s_and_saveexec_b64 s[16:17], vcc
	s_cbranch_execz .LBB4_609
; %bb.602:                              ;   in Loop: Header=BB4_381 Depth=2
	v_lshrrev_b32_e32 v2, 24, v40
	v_cmp_ne_u32_e32 vcc, s66, v2
	v_bfrev_b32_e32 v29, 1
	s_and_saveexec_b64 s[46:47], vcc
	s_cbranch_execz .LBB4_608
; %bb.603:                              ;   in Loop: Header=BB4_381 Depth=2
	v_and_b32_e32 v4, 0x7c000000, v40
	v_bfe_u32 v3, v40, 24, 2
	v_cmp_ne_u32_e32 vcc, s70, v4
                                        ; implicit-def: $vgpr29
	s_and_saveexec_b64 s[48:49], vcc
	s_xor_b64 s[48:49], exec, s[48:49]
	s_cbranch_execz .LBB4_605
; %bb.604:                              ;   in Loop: Header=BB4_381 Depth=2
	v_ffbh_u32_e32 v10, v3
	v_min_u32_e32 v10, 32, v10
	v_bfe_u32 v4, v40, 26, 5
	v_subrev_u32_e32 v16, 29, v10
	v_lshlrev_b64 v[16:17], v16, v[2:3]
	v_sub_u32_e32 v2, 30, v10
	v_cmp_eq_u32_e32 vcc, 0, v4
	v_cndmask_b32_e32 v2, v4, v2, vcc
	v_and_b32_e32 v10, 3, v16
	v_lshl_add_u32 v2, v2, 23, v25
	v_cndmask_b32_e32 v3, v3, v10, vcc
	v_and_or_b32 v2, v40, s65, v2
	v_lshl_or_b32 v29, v3, 21, v2
                                        ; implicit-def: $vgpr3
.LBB4_605:                              ;   in Loop: Header=BB4_381 Depth=2
	s_andn2_saveexec_b64 s[48:49], s[48:49]
; %bb.606:                              ;   in Loop: Header=BB4_381 Depth=2
	v_cmp_lt_i32_e32 vcc, -1, v40
	v_cndmask_b32_e32 v2, v47, v6, vcc
	v_cmp_eq_u32_e32 vcc, 0, v3
	v_cndmask_b32_e32 v29, v7, v2, vcc
; %bb.607:                              ;   in Loop: Header=BB4_381 Depth=2
	s_or_b64 exec, exec, s[48:49]
.LBB4_608:                              ;   in Loop: Header=BB4_381 Depth=2
	s_or_b64 exec, exec, s[46:47]
.LBB4_609:                              ;   in Loop: Header=BB4_381 Depth=2
	s_or_b64 exec, exec, s[16:17]
	v_mul_f32_e32 v3, v31, v29
	v_and_b32_sdwa v4, v3, s66 dst_sel:DWORD dst_unused:UNUSED_PAD src0_sel:BYTE_3 src1_sel:DWORD
	v_and_b32_e32 v16, 0x7f800000, v3
	v_mov_b32_e32 v17, v41
	v_and_b32_e32 v40, 0x7fffff, v3
	v_or_b32_e32 v2, 0x7b, v4
	v_cmp_ne_u64_e32 vcc, s[38:39], v[16:17]
	s_and_saveexec_b64 s[16:17], vcc
	s_xor_b64 s[46:47], exec, s[16:17]
	s_cbranch_execz .LBB4_619
; %bb.610:                              ;   in Loop: Header=BB4_381 Depth=2
	v_and_b32_e32 v16, 0x7fffffff, v3
	v_mov_b32_e32 v17, v41
	v_cmp_gt_u64_e32 vcc, s[40:41], v[16:17]
	s_and_saveexec_b64 s[48:49], vcc
	s_cbranch_execz .LBB4_618
; %bb.611:                              ;   in Loop: Header=BB4_381 Depth=2
	v_cmp_ne_u32_e32 vcc, 0, v3
	v_mov_b32_e32 v2, 0
	s_and_saveexec_b64 s[50:51], vcc
	s_cbranch_execz .LBB4_617
; %bb.612:                              ;   in Loop: Header=BB4_381 Depth=2
	v_bfe_u32 v2, v3, 23, 8
	v_sub_u32_e32 v10, 0x71, v2
	v_cmp_gt_u32_e32 vcc, s67, v2
	v_cndmask_b32_e32 v10, 0, v10, vcc
	v_cmp_eq_u32_e32 vcc, 0, v2
	v_or_b32_e32 v16, 0x800000, v40
	v_cndmask_b32_e32 v10, v10, v55, vcc
	v_add_u32_e32 v3, 0xffffff81, v2
	v_cndmask_b32_e32 v40, v16, v40, vcc
	v_add_u32_e32 v2, 21, v10
	v_cndmask_b32_e32 v22, v3, v54, vcc
	v_lshlrev_b64 v[2:3], v2, -1
	v_lshrrev_b64 v[32:33], v10, v[40:41]
	v_not_b32_e32 v3, v3
	v_not_b32_e32 v2, v2
	v_add_u32_e32 v16, 20, v10
	v_lshrrev_b32_e32 v23, 23, v32
	v_and_b32_e32 v3, 0, v3
	v_and_b32_e32 v2, v40, v2
	v_lshlrev_b64 v[16:17], v16, 1
	v_add3_u32 v23, v10, v22, v23
	v_bfe_u32 v10, v32, 21, 1
	v_add_u32_e32 v10, -1, v10
	v_cmp_eq_u64_e32 vcc, v[2:3], v[16:17]
	v_cndmask_b32_e32 v2, 0, v10, vcc
	v_add_u32_e32 v2, v2, v32
	v_and_b32_e32 v2, 0x1fffff, v2
	v_add_co_u32_e32 v2, vcc, v2, v32
	v_add_u32_e32 v22, 14, v23
	v_addc_co_u32_e32 v3, vcc, 0, v33, vcc
	v_cmp_ne_u32_e32 vcc, 0, v22
                                        ; implicit-def: $vgpr10
	s_and_saveexec_b64 s[16:17], vcc
	s_xor_b64 s[16:17], exec, s[16:17]
; %bb.613:                              ;   in Loop: Header=BB4_381 Depth=2
	v_cmp_lt_u64_e32 vcc, s[42:43], v[2:3]
	v_add_u32_e32 v10, 15, v23
	v_cndmask_b32_e64 v16, 0, 1, vcc
	v_cndmask_b32_e32 v10, v22, v10, vcc
	v_lshrrev_b64 v[2:3], v16, v[2:3]
; %bb.614:                              ;   in Loop: Header=BB4_381 Depth=2
	s_andn2_saveexec_b64 s[16:17], s[16:17]
; %bb.615:                              ;   in Loop: Header=BB4_381 Depth=2
	v_bfe_u32 v10, v2, 23, 1
; %bb.616:                              ;   in Loop: Header=BB4_381 Depth=2
	s_or_b64 exec, exec, s[16:17]
	v_lshrrev_b64 v[2:3], 21, v[2:3]
	v_cmp_gt_i32_e32 vcc, 32, v10
	v_cndmask_b32_e32 v3, 0, v3, vcc
	v_cndmask_b32_e32 v2, 3, v2, vcc
	v_cmp_eq_u64_e64 s[16:17], 0, v[2:3]
	v_min_i32_e32 v3, 31, v10
	v_lshlrev_b32_e32 v3, 2, v3
	v_cmp_eq_u32_e32 vcc, 0, v10
	v_and_b32_e32 v3, 0xfc, v3
	v_and_or_b32 v2, v2, 3, v3
	s_and_b64 s[16:17], vcc, s[16:17]
	v_cndmask_b32_e64 v2, v2, 0, s[16:17]
	v_or_b32_e32 v2, v2, v4
.LBB4_617:                              ;   in Loop: Header=BB4_381 Depth=2
	s_or_b64 exec, exec, s[50:51]
.LBB4_618:                              ;   in Loop: Header=BB4_381 Depth=2
	s_or_b64 exec, exec, s[48:49]
                                        ; implicit-def: $vgpr3
.LBB4_619:                              ;   in Loop: Header=BB4_381 Depth=2
	s_andn2_saveexec_b64 s[16:17], s[46:47]
; %bb.620:                              ;   in Loop: Header=BB4_381 Depth=2
	v_or_b32_sdwa v3, v3, s68 dst_sel:DWORD dst_unused:UNUSED_PAD src0_sel:BYTE_3 src1_sel:DWORD
	v_cmp_eq_u64_e32 vcc, 0, v[40:41]
	v_cndmask_b32_e32 v2, v3, v2, vcc
; %bb.621:                              ;   in Loop: Header=BB4_381 Depth=2
	s_or_b64 exec, exec, s[16:17]
	v_lshlrev_b32_e32 v3, 8, v27
	v_lshlrev_b32_e32 v2, 24, v2
	;; [unrolled: 1-line block ×3, first 2 shown]
	v_perm_b32 v3, v3, v5, s71
	v_cmp_lt_u32_e32 vcc, 7, v60
	v_or3_b32 v3, v2, v3, v4
	v_cndmask_b32_e64 v2, 0, 1, vcc
	;;#ASMSTART
	;;#ASMEND
	v_cmp_ne_u32_e64 s[16:17], 0, v2
	s_cmp_lg_u64 s[16:17], exec
	s_mov_b64 s[16:17], -1
	s_cbranch_scc0 .LBB4_631
; %bb.622:                              ;   in Loop: Header=BB4_381 Depth=2
	v_cmp_ne_u32_e64 s[16:17], 1, v60
	flat_store_byte v[0:1], v8
	s_and_saveexec_b64 s[46:47], s[16:17]
	s_cbranch_execnz .LBB4_633
; %bb.623:                              ;   in Loop: Header=BB4_381 Depth=2
	s_or_b64 exec, exec, s[46:47]
	v_cmp_lt_u32_e64 s[16:17], 2, v60
	s_and_saveexec_b64 s[46:47], s[16:17]
	s_cbranch_execnz .LBB4_634
.LBB4_624:                              ;   in Loop: Header=BB4_381 Depth=2
	s_or_b64 exec, exec, s[46:47]
	v_cmp_lt_u32_e64 s[16:17], 3, v60
	s_and_saveexec_b64 s[46:47], s[16:17]
	s_cbranch_execnz .LBB4_635
.LBB4_625:                              ;   in Loop: Header=BB4_381 Depth=2
	s_or_b64 exec, exec, s[46:47]
	v_cmp_lt_u32_e64 s[16:17], 4, v60
	s_and_saveexec_b64 s[46:47], s[16:17]
	s_cbranch_execnz .LBB4_636
.LBB4_626:                              ;   in Loop: Header=BB4_381 Depth=2
	s_or_b64 exec, exec, s[46:47]
	v_cmp_lt_u32_e64 s[16:17], 5, v60
	s_and_saveexec_b64 s[46:47], s[16:17]
	s_cbranch_execnz .LBB4_637
.LBB4_627:                              ;   in Loop: Header=BB4_381 Depth=2
	s_or_b64 exec, exec, s[46:47]
	v_cmp_lt_u32_e64 s[16:17], 6, v60
	s_and_saveexec_b64 s[46:47], s[16:17]
	s_cbranch_execnz .LBB4_638
.LBB4_628:                              ;   in Loop: Header=BB4_381 Depth=2
	s_or_b64 exec, exec, s[46:47]
	s_and_saveexec_b64 s[16:17], vcc
	s_cbranch_execz .LBB4_630
.LBB4_629:                              ;   in Loop: Header=BB4_381 Depth=2
	v_lshrrev_b32_e32 v2, 24, v3
	flat_store_byte v[0:1], v2 offset:7
.LBB4_630:                              ;   in Loop: Header=BB4_381 Depth=2
	s_or_b64 exec, exec, s[16:17]
	s_mov_b64 s[16:17], 0
.LBB4_631:                              ;   in Loop: Header=BB4_381 Depth=2
	s_and_b64 vcc, exec, s[16:17]
	s_cbranch_vccz .LBB4_380
; %bb.632:                              ;   in Loop: Header=BB4_381 Depth=2
	v_perm_b32 v4, v11, v21, s72
	v_lshlrev_b32_e32 v2, 8, v9
	v_perm_b32 v4, v4, v8, s73
	v_and_or_b32 v2, v2, s74, v4
	global_store_dwordx2 v[0:1], v[2:3], off
	s_branch .LBB4_380
.LBB4_633:                              ;   in Loop: Header=BB4_381 Depth=2
	flat_store_byte v[0:1], v9 offset:1
	s_or_b64 exec, exec, s[46:47]
	v_cmp_lt_u32_e64 s[16:17], 2, v60
	s_and_saveexec_b64 s[46:47], s[16:17]
	s_cbranch_execz .LBB4_624
.LBB4_634:                              ;   in Loop: Header=BB4_381 Depth=2
	flat_store_byte v[0:1], v21 offset:2
	s_or_b64 exec, exec, s[46:47]
	v_cmp_lt_u32_e64 s[16:17], 3, v60
	s_and_saveexec_b64 s[46:47], s[16:17]
	s_cbranch_execz .LBB4_625
.LBB4_635:                              ;   in Loop: Header=BB4_381 Depth=2
	flat_store_byte v[0:1], v11 offset:3
	s_or_b64 exec, exec, s[46:47]
	v_cmp_lt_u32_e64 s[16:17], 4, v60
	s_and_saveexec_b64 s[46:47], s[16:17]
	s_cbranch_execz .LBB4_626
.LBB4_636:                              ;   in Loop: Header=BB4_381 Depth=2
	flat_store_byte v[0:1], v5 offset:4
	s_or_b64 exec, exec, s[46:47]
	v_cmp_lt_u32_e64 s[16:17], 5, v60
	s_and_saveexec_b64 s[46:47], s[16:17]
	s_cbranch_execz .LBB4_627
.LBB4_637:                              ;   in Loop: Header=BB4_381 Depth=2
	flat_store_byte v[0:1], v27 offset:5
	s_or_b64 exec, exec, s[46:47]
	v_cmp_lt_u32_e64 s[16:17], 6, v60
	s_and_saveexec_b64 s[46:47], s[16:17]
	s_cbranch_execz .LBB4_628
.LBB4_638:                              ;   in Loop: Header=BB4_381 Depth=2
	flat_store_byte v[0:1], v28 offset:6
	s_or_b64 exec, exec, s[46:47]
	s_and_saveexec_b64 s[16:17], vcc
	s_cbranch_execnz .LBB4_629
	s_branch .LBB4_630
.LBB4_639:                              ;   in Loop: Header=BB4_21 Depth=1
	s_or_b64 exec, exec, s[44:45]
	v_accvgpr_read_b32 v51, a5
	v_accvgpr_read_b32 v33, a11
	;; [unrolled: 1-line block ×12, first 2 shown]
	s_or_b64 exec, exec, s[18:19]
	s_and_saveexec_b64 s[16:17], s[10:11]
	s_cbranch_execz .LBB4_378
.LBB4_640:                              ;   in Loop: Header=BB4_21 Depth=1
	s_and_saveexec_b64 s[18:19], s[28:29]
	s_xor_b64 s[18:19], exec, s[18:19]
	s_cbranch_execz .LBB4_655
; %bb.641:                              ;   in Loop: Header=BB4_21 Depth=1
	s_and_saveexec_b64 s[44:45], s[12:13]
	s_cbranch_execz .LBB4_654
; %bb.642:                              ;   in Loop: Header=BB4_21 Depth=1
	s_mov_b64 s[48:49], exec
	v_mbcnt_lo_u32_b32 v0, s48, 0
	v_mbcnt_hi_u32_b32 v0, s49, v0
	v_cmp_eq_u32_e32 vcc, 0, v0
	s_waitcnt vmcnt(0) lgkmcnt(0)
	buffer_wbinvl1_vol
	s_and_saveexec_b64 s[46:47], vcc
	s_cbranch_execz .LBB4_644
; %bb.643:                              ;   in Loop: Header=BB4_21 Depth=1
	s_bcnt1_i32_b64 vcc_lo, s[48:49]
	v_mov_b32_e32 v40, vcc_lo
	ds_add_u64 v0, v[40:41]
	s_trap 2
.LBB4_644:                              ;   in Loop: Header=BB4_21 Depth=1
	s_or_b64 exec, exec, s[46:47]
	s_trap 2
	ds_read_b64 v[0:1], v0
	v_accvgpr_read_b32 v2, a30
	v_add_co_u32_e32 v42, vcc, v42, v2
	v_accvgpr_read_b32 v3, a41
	v_addc_co_u32_e32 v43, vcc, v43, v3, vcc
	s_waitcnt lgkmcnt(0)
	v_cmp_lt_u64_e32 vcc, v[0:1], v[42:43]
	s_and_saveexec_b64 s[46:47], vcc
	s_cbranch_execz .LBB4_653
; %bb.645:                              ;   in Loop: Header=BB4_21 Depth=1
	s_mov_b32 s58, 0
	s_mov_b64 s[48:49], 0
                                        ; implicit-def: $sgpr50_sgpr51
                                        ; implicit-def: $sgpr52_sgpr53
	s_branch .LBB4_647
.LBB4_646:                              ;   in Loop: Header=BB4_647 Depth=2
	s_or_b64 exec, exec, s[56:57]
	s_and_b64 vcc, exec, vcc
	s_or_b64 s[48:49], vcc, s[48:49]
	s_andn2_b64 vcc, s[50:51], exec
	s_and_b64 s[50:51], s[52:53], exec
	s_or_b64 s[50:51], vcc, s[50:51]
	s_andn2_b64 exec, exec, s[48:49]
	s_cbranch_execz .LBB4_651
.LBB4_647:                              ;   Parent Loop BB4_21 Depth=1
                                        ; =>  This Inner Loop Header: Depth=2
	s_add_i32 s58, s58, 1
	s_cmpk_lg_i32 s58, 0x2710
	s_cselect_b64 s[54:55], -1, 0
	s_and_b64 vcc, exec, s[54:55]
                                        ; implicit-def: $sgpr56_sgpr57
	s_cbranch_vccnz .LBB4_649
; %bb.648:                              ;   in Loop: Header=BB4_647 Depth=2
	s_trap 2
	ds_read_b64 v[0:1], v0
	s_andn2_b64 s[54:55], s[54:55], exec
	s_mov_b32 s58, 0
	s_mov_b64 s[56:57], -1
	s_waitcnt lgkmcnt(0)
	flat_load_dword v0, v[0:1] glc
	s_waitcnt vmcnt(0) lgkmcnt(0)
	buffer_invl2
	buffer_wbinvl1_vol
	v_cmp_eq_u32_e32 vcc, 0, v0
	s_and_b64 vcc, vcc, exec
	s_or_b64 s[54:55], s[54:55], vcc
.LBB4_649:                              ;   in Loop: Header=BB4_647 Depth=2
	s_andn2_b64 s[52:53], s[52:53], exec
	s_and_b64 s[56:57], s[56:57], exec
	s_mov_b64 vcc, -1
	s_or_b64 s[52:53], s[52:53], s[56:57]
	s_and_saveexec_b64 s[56:57], s[54:55]
	s_cbranch_execz .LBB4_646
; %bb.650:                              ;   in Loop: Header=BB4_647 Depth=2
	s_sleep 1
	s_trap 2
	ds_read_b64 v[0:1], v0
	s_andn2_b64 s[52:53], s[52:53], exec
	s_waitcnt lgkmcnt(0)
	v_cmp_ge_u64_e32 vcc, v[0:1], v[42:43]
	s_orn2_b64 vcc, vcc, exec
	s_branch .LBB4_646
.LBB4_651:                              ;   in Loop: Header=BB4_21 Depth=1
	s_or_b64 exec, exec, s[48:49]
	s_and_saveexec_b64 vcc, s[50:51]
	s_xor_b64 vcc, exec, vcc
	s_cbranch_execz .LBB4_653
; %bb.652:                              ;   in Loop: Header=BB4_21 Depth=1
	v_mov_b32_e32 v0, 1
	ds_write_b32 v0, v0
	s_trap 2
.LBB4_653:                              ;   in Loop: Header=BB4_21 Depth=1
	s_or_b64 exec, exec, s[46:47]
	;;#ASMSTART
	s_wakeup
	;;#ASMEND
.LBB4_654:                              ;   in Loop: Header=BB4_21 Depth=1
	s_or_b64 exec, exec, s[44:45]
.LBB4_655:                              ;   in Loop: Header=BB4_21 Depth=1
	s_andn2_saveexec_b64 s[18:19], s[18:19]
	s_cbranch_execz .LBB4_657
; %bb.656:                              ;   in Loop: Header=BB4_21 Depth=1
	s_waitcnt vmcnt(0) lgkmcnt(0)
	buffer_wbinvl1_vol
	s_barrier
.LBB4_657:                              ;   in Loop: Header=BB4_21 Depth=1
	s_or_b64 exec, exec, s[18:19]
	s_or_b64 exec, exec, s[16:17]
	s_and_saveexec_b64 s[16:17], s[14:15]
	s_cbranch_execz .LBB4_20
.LBB4_658:                              ;   in Loop: Header=BB4_21 Depth=1
	v_add_co_u32_e32 v38, vcc, 1, v38
	v_accvgpr_read_b32 v0, a22
	v_addc_co_u32_e32 v39, vcc, 0, v39, vcc
	v_accvgpr_read_b32 v1, a23
	flat_store_dwordx2 v[0:1], v[38:39]
	s_branch .LBB4_20
.LBB4_659:
	s_or_b64 exec, exec, s[26:27]
	v_accvgpr_read_b32 v23, a15
	v_accvgpr_read_b32 v25, a17
	;; [unrolled: 1-line block ×6, first 2 shown]
.LBB4_660:
	s_or_b64 exec, exec, s[24:25]
; %bb.661:
	s_and_saveexec_b64 s[6:7], s[22:23]
	s_cbranch_execnz .LBB4_664
; %bb.662:
	s_or_b64 exec, exec, s[6:7]
	s_and_saveexec_b64 s[6:7], s[4:5]
	s_cbranch_execnz .LBB4_665
.LBB4_663:
	s_or_b64 exec, exec, s[6:7]
	v_cmp_ne_u32_e32 vcc, 64, v20
	s_and_saveexec_b64 s[4:5], vcc
	s_cbranch_execnz .LBB4_666
	s_branch .LBB4_683
.LBB4_664:
	s_waitcnt vmcnt(0) lgkmcnt(0)
	flat_store_dwordx2 v[24:25], v[38:39] offset:104
	s_or_b64 exec, exec, s[6:7]
	s_and_saveexec_b64 s[6:7], s[4:5]
	s_cbranch_execz .LBB4_663
.LBB4_665:
	s_waitcnt vmcnt(0) lgkmcnt(0)
	flat_store_dwordx2 v[22:23], v[14:15] offset:104
	s_or_b64 exec, exec, s[6:7]
	v_cmp_ne_u32_e32 vcc, 64, v20
	s_and_saveexec_b64 s[4:5], vcc
	s_cbranch_execz .LBB4_683
.LBB4_666:
	v_cmp_ne_u32_sdwa s[6:7], v16, v20 src0_sel:WORD_0 src1_sel:DWORD
	s_and_saveexec_b64 s[8:9], s[6:7]
	s_xor_b64 s[6:7], exec, s[8:9]
	s_cbranch_execz .LBB4_681
; %bb.667:
	v_and_b32_e32 v0, 63, v31
	v_cmp_eq_u32_e32 vcc, 0, v0
	s_and_saveexec_b64 s[8:9], vcc
	s_cbranch_execz .LBB4_680
; %bb.668:
	s_mov_b64 s[12:13], exec
	v_mbcnt_lo_u32_b32 v0, s12, 0
	v_mbcnt_hi_u32_b32 v0, s13, v0
	v_cmp_eq_u32_e32 vcc, 0, v0
	s_waitcnt vmcnt(0) lgkmcnt(0)
	buffer_wbinvl1_vol
	s_and_saveexec_b64 s[10:11], vcc
	s_cbranch_execz .LBB4_670
; %bb.669:
	s_bcnt1_i32_b64 s12, s[12:13]
	v_mov_b32_e32 v0, s12
	v_mov_b32_e32 v1, 0
	ds_add_u64 v0, v[0:1]
	s_trap 2
.LBB4_670:
	s_or_b64 exec, exec, s[10:11]
	v_ashrrev_i32_e32 v0, 31, v20
	v_lshrrev_b32_e32 v0, 26, v0
	v_add_u32_e32 v0, v20, v0
	v_ashrrev_i32_e32 v0, 6, v0
	s_trap 2
	ds_read_b64 v[2:3], v0
	v_ashrrev_i32_e32 v1, 31, v0
	v_add_co_u32_e32 v0, vcc, v42, v0
	v_addc_co_u32_e32 v1, vcc, v43, v1, vcc
	s_waitcnt lgkmcnt(0)
	v_cmp_lt_u64_e32 vcc, v[2:3], v[0:1]
	s_and_saveexec_b64 s[10:11], vcc
	s_cbranch_execz .LBB4_679
; %bb.671:
	s_mov_b32 s24, 0
	s_mov_b64 s[12:13], 0
                                        ; implicit-def: $sgpr14_sgpr15
                                        ; implicit-def: $sgpr16_sgpr17
	s_branch .LBB4_673
.LBB4_672:                              ;   in Loop: Header=BB4_673 Depth=1
	s_or_b64 exec, exec, s[22:23]
	s_and_b64 s[18:19], exec, s[20:21]
	s_or_b64 s[12:13], s[18:19], s[12:13]
	s_andn2_b64 s[14:15], s[14:15], exec
	s_and_b64 s[18:19], s[16:17], exec
	s_or_b64 s[14:15], s[14:15], s[18:19]
	s_andn2_b64 exec, exec, s[12:13]
	s_cbranch_execz .LBB4_677
.LBB4_673:                              ; =>This Inner Loop Header: Depth=1
	s_add_i32 s24, s24, 1
	s_cmpk_lg_i32 s24, 0x2710
	s_cselect_b64 s[18:19], -1, 0
	s_and_b64 vcc, exec, s[18:19]
                                        ; implicit-def: $sgpr22_sgpr23
	s_cbranch_vccnz .LBB4_675
; %bb.674:                              ;   in Loop: Header=BB4_673 Depth=1
	s_trap 2
	ds_read_b64 v[2:3], v0
	s_andn2_b64 s[18:19], s[18:19], exec
	s_mov_b32 s24, 0
	s_mov_b64 s[22:23], -1
	s_waitcnt lgkmcnt(0)
	flat_load_dword v2, v[2:3] glc
	s_waitcnt vmcnt(0) lgkmcnt(0)
	buffer_invl2
	buffer_wbinvl1_vol
	v_cmp_eq_u32_e32 vcc, 0, v2
	s_and_b64 s[20:21], vcc, exec
	s_or_b64 s[18:19], s[18:19], s[20:21]
.LBB4_675:                              ;   in Loop: Header=BB4_673 Depth=1
	s_andn2_b64 s[16:17], s[16:17], exec
	s_and_b64 s[22:23], s[22:23], exec
	s_mov_b64 s[20:21], -1
	s_or_b64 s[16:17], s[16:17], s[22:23]
	s_and_saveexec_b64 s[22:23], s[18:19]
	s_cbranch_execz .LBB4_672
; %bb.676:                              ;   in Loop: Header=BB4_673 Depth=1
	s_sleep 1
	s_trap 2
	ds_read_b64 v[2:3], v0
	s_andn2_b64 s[16:17], s[16:17], exec
	s_waitcnt lgkmcnt(0)
	v_cmp_ge_u64_e32 vcc, v[2:3], v[0:1]
	s_orn2_b64 s[20:21], vcc, exec
	s_branch .LBB4_672
.LBB4_677:
	s_or_b64 exec, exec, s[12:13]
	s_and_saveexec_b64 s[12:13], s[14:15]
	s_xor_b64 s[12:13], exec, s[12:13]
	s_cbranch_execz .LBB4_679
; %bb.678:
	v_mov_b32_e32 v0, 1
	ds_write_b32 v0, v0
	s_trap 2
.LBB4_679:
	s_or_b64 exec, exec, s[10:11]
	;;#ASMSTART
	s_wakeup
	;;#ASMEND
.LBB4_680:
	s_or_b64 exec, exec, s[8:9]
.LBB4_681:
	s_andn2_saveexec_b64 s[6:7], s[6:7]
	s_cbranch_execz .LBB4_683
; %bb.682:
	s_waitcnt vmcnt(0) lgkmcnt(0)
	buffer_wbinvl1_vol
	s_barrier
.LBB4_683:
	s_or_b64 exec, exec, s[4:5]
	buffer_load_dword a49, off, s[0:3], s32 ; 4-byte Folded Reload
	buffer_load_dword a48, off, s[0:3], s32 offset:4 ; 4-byte Folded Reload
	buffer_load_dword a46, off, s[0:3], s32 offset:8 ; 4-byte Folded Reload
	buffer_load_dword a45, off, s[0:3], s32 offset:12 ; 4-byte Folded Reload
	buffer_load_dword a44, off, s[0:3], s32 offset:16 ; 4-byte Folded Reload
	buffer_load_dword a43, off, s[0:3], s32 offset:20 ; 4-byte Folded Reload
	buffer_load_dword a42, off, s[0:3], s32 offset:24 ; 4-byte Folded Reload
	buffer_load_dword a41, off, s[0:3], s32 offset:28 ; 4-byte Folded Reload
	buffer_load_dword a40, off, s[0:3], s32 offset:32 ; 4-byte Folded Reload
	buffer_load_dword a39, off, s[0:3], s32 offset:36 ; 4-byte Folded Reload
	buffer_load_dword a38, off, s[0:3], s32 offset:40 ; 4-byte Folded Reload
	buffer_load_dword a37, off, s[0:3], s32 offset:44 ; 4-byte Folded Reload
	buffer_load_dword a36, off, s[0:3], s32 offset:48 ; 4-byte Folded Reload
	buffer_load_dword a35, off, s[0:3], s32 offset:52 ; 4-byte Folded Reload
	buffer_load_dword a34, off, s[0:3], s32 offset:56 ; 4-byte Folded Reload
	buffer_load_dword a33, off, s[0:3], s32 offset:60 ; 4-byte Folded Reload
	buffer_load_dword a32, off, s[0:3], s32 offset:64 ; 4-byte Folded Reload
	buffer_load_dword v62, off, s[0:3], s32 offset:68 ; 4-byte Folded Reload
	buffer_load_dword v61, off, s[0:3], s32 offset:72 ; 4-byte Folded Reload
	buffer_load_dword v60, off, s[0:3], s32 offset:76 ; 4-byte Folded Reload
	buffer_load_dword v59, off, s[0:3], s32 offset:80 ; 4-byte Folded Reload
	buffer_load_dword v58, off, s[0:3], s32 offset:84 ; 4-byte Folded Reload
	buffer_load_dword v57, off, s[0:3], s32 offset:88 ; 4-byte Folded Reload
	buffer_load_dword v56, off, s[0:3], s32 offset:92 ; 4-byte Folded Reload
	buffer_load_dword v47, off, s[0:3], s32 offset:96 ; 4-byte Folded Reload
	buffer_load_dword v46, off, s[0:3], s32 offset:100 ; 4-byte Folded Reload
	buffer_load_dword v45, off, s[0:3], s32 offset:104 ; 4-byte Folded Reload
	buffer_load_dword v44, off, s[0:3], s32 offset:108 ; 4-byte Folded Reload
	buffer_load_dword v43, off, s[0:3], s32 offset:112 ; 4-byte Folded Reload
	buffer_load_dword v42, off, s[0:3], s32 offset:116 ; 4-byte Folded Reload
	buffer_load_dword v41, off, s[0:3], s32 offset:120 ; 4-byte Folded Reload
	buffer_load_dword v40, off, s[0:3], s32 offset:124 ; 4-byte Folded Reload
	v_readlane_b32 s30, v63, 43
	v_readlane_b32 s31, v63, 44
	;; [unrolled: 1-line block ×45, first 2 shown]
	s_or_saveexec_b64 s[4:5], -1
	buffer_load_dword v63, off, s[0:3], s32 offset:128 ; 4-byte Folded Reload
	s_mov_b64 exec, s[4:5]
	s_waitcnt vmcnt(0) lgkmcnt(0)
	s_setpc_b64 s[30:31]
.Lfunc_end4:
	.size	_ZN12_GLOBAL__N_17runRingI14__hip_fp8_e5m28FuncProdIS1_E7ProtoLLLi0ELi4ELi0EEEviiP15ncclDevWorkColl, .Lfunc_end4-_ZN12_GLOBAL__N_17runRingI14__hip_fp8_e5m28FuncProdIS1_E7ProtoLLLi0ELi4ELi0EEEviiP15ncclDevWorkColl
                                        ; -- End function
	.section	.AMDGPU.csdata,"",@progbits
; Function info:
; codeLenInByte = 21912
; NumSgprs: 81
; NumVgprs: 64
; NumAgprs: 50
; TotalNumVgprs: 114
; ScratchSize: 136
; MemoryBound: 0
	.text
	.p2align	2                               ; -- Begin function _Z51ncclDevFunc_ReduceScatter_RING_LL_Prod_f8e5m2_0_0_4v
	.type	_Z51ncclDevFunc_ReduceScatter_RING_LL_Prod_f8e5m2_0_0_4v,@function
_Z51ncclDevFunc_ReduceScatter_RING_LL_Prod_f8e5m2_0_0_4v: ; @_Z51ncclDevFunc_ReduceScatter_RING_LL_Prod_f8e5m2_0_0_4v
; %bb.0:
	s_waitcnt vmcnt(0) expcnt(0) lgkmcnt(0)
	s_mov_b32 s4, s33
	s_mov_b32 s33, s32
	s_or_saveexec_b64 s[6:7], -1
	buffer_store_dword v43, off, s[0:3], s33 offset:16 ; 4-byte Folded Spill
	s_mov_b64 exec, s[6:7]
	v_writelane_b32 v43, s4, 53
	s_addk_i32 s32, 0x800
	buffer_store_dword v40, off, s[0:3], s33 offset:12 ; 4-byte Folded Spill
	buffer_store_dword v41, off, s[0:3], s33 offset:8 ; 4-byte Folded Spill
	;; [unrolled: 1-line block ×3, first 2 shown]
	buffer_store_dword v63, off, s[0:3], s33 ; 4-byte Folded Spill
	v_writelane_b32 v43, s34, 0
	v_writelane_b32 v43, s35, 1
	;; [unrolled: 1-line block ×53, first 2 shown]
	s_trap 2
	ds_read_b32 v0, v0
	v_mov_b32_e32 v40, v31
	s_mov_b32 s77, s12
	s_mov_b64 s[78:79], s[8:9]
	s_waitcnt lgkmcnt(0)
	v_cmp_gt_i32_e32 vcc, 1, v0
	s_cbranch_vccnz .LBB5_8
; %bb.1:
	s_mov_b32 s84, 0
	v_and_b32_e32 v41, 0x3ff, v40
	s_mov_b64 s[80:81], src_shared_base
	v_mov_b32_e32 v42, 6
	s_branch .LBB5_3
.LBB5_2:                                ;   in Loop: Header=BB5_3 Depth=1
	s_or_b64 exec, exec, s[82:83]
	s_trap 2
	ds_read_b32 v0, v0
	s_add_i32 s84, s84, 1
	s_waitcnt lgkmcnt(0)
	v_cmp_lt_i32_e32 vcc, s84, v0
	s_cbranch_vccz .LBB5_8
.LBB5_3:                                ; =>This Inner Loop Header: Depth=1
	s_trap 2
	ds_read_b32 v0, v0
	s_cmp_eq_u32 s84, 0
	s_cbranch_scc1 .LBB5_6
; %bb.4:                                ;   in Loop: Header=BB5_3 Depth=1
	s_trap 2
	s_waitcnt lgkmcnt(0)
	ds_read_b32 v1, v0
	s_waitcnt lgkmcnt(0)
	v_xor_b32_e32 v1, v1, v0
	v_and_b32_e32 v1, 0xff0000, v1
	v_cmp_eq_u32_e32 vcc, 0, v1
	s_cbranch_vccnz .LBB5_6
; %bb.5:                                ;   in Loop: Header=BB5_3 Depth=1
	s_barrier
	ds_read_b32 v0, v0
.LBB5_6:                                ;   in Loop: Header=BB5_3 Depth=1
	s_waitcnt lgkmcnt(0)
	v_lshlrev_b32_sdwa v1, v42, v0 dst_sel:DWORD dst_unused:UNUSED_PAD src0_sel:DWORD src1_sel:BYTE_2
	v_cmp_lt_u32_e32 vcc, v41, v1
	s_and_saveexec_b64 s[82:83], vcc
	s_cbranch_execz .LBB5_2
; %bb.7:                                ;   in Loop: Header=BB5_3 Depth=1
	s_mov_b64 s[8:9], s[78:79]
	s_mov_b32 s12, s77
	v_mov_b32_e32 v31, v40
	v_mov_b32_e32 v0, v41
	;; [unrolled: 1-line block ×3, first 2 shown]
	s_getpc_b64 s[4:5]
	s_add_u32 s4, s4, _ZN12_GLOBAL__N_17runRingI14__hip_fp8_e5m28FuncProdIS1_E7ProtoLLLi0ELi4ELi0EEEviiP15ncclDevWorkColl@rel32@lo+4
	s_addc_u32 s5, s5, _ZN12_GLOBAL__N_17runRingI14__hip_fp8_e5m28FuncProdIS1_E7ProtoLLLi0ELi4ELi0EEEviiP15ncclDevWorkColl@rel32@hi+12
	s_swappc_b64 s[30:31], s[4:5]
	s_branch .LBB5_2
.LBB5_8:
	buffer_load_dword v63, off, s[0:3], s33 ; 4-byte Folded Reload
	buffer_load_dword v42, off, s[0:3], s33 offset:4 ; 4-byte Folded Reload
	buffer_load_dword v41, off, s[0:3], s33 offset:8 ; 4-byte Folded Reload
	;; [unrolled: 1-line block ×3, first 2 shown]
	v_readlane_b32 s30, v43, 51
	v_readlane_b32 s31, v43, 52
	;; [unrolled: 1-line block ×54, first 2 shown]
	s_or_saveexec_b64 s[6:7], -1
	buffer_load_dword v43, off, s[0:3], s33 offset:16 ; 4-byte Folded Reload
	s_mov_b64 exec, s[6:7]
	s_addk_i32 s32, 0xf800
	s_mov_b32 s33, s4
	s_waitcnt vmcnt(0)
	s_setpc_b64 s[30:31]
.Lfunc_end5:
	.size	_Z51ncclDevFunc_ReduceScatter_RING_LL_Prod_f8e5m2_0_0_4v, .Lfunc_end5-_Z51ncclDevFunc_ReduceScatter_RING_LL_Prod_f8e5m2_0_0_4v
                                        ; -- End function
	.section	.AMDGPU.csdata,"",@progbits
; Function info:
; codeLenInByte = 1228
; NumSgprs: 89
; NumVgprs: 64
; NumAgprs: 50
; TotalNumVgprs: 114
; ScratchSize: 168
; MemoryBound: 0
	.text
	.p2alignl 6, 3212836864
	.fill 256, 4, 3212836864
	.type	__hip_cuid_412c3899cc96558a,@object ; @__hip_cuid_412c3899cc96558a
	.section	.bss,"aw",@nobits
	.globl	__hip_cuid_412c3899cc96558a
__hip_cuid_412c3899cc96558a:
	.byte	0                               ; 0x0
	.size	__hip_cuid_412c3899cc96558a, 1

	.ident	"AMD clang version 19.0.0git (https://github.com/RadeonOpenCompute/llvm-project roc-6.4.0 25133 c7fe45cf4b819c5991fe208aaa96edf142730f1d)"
	.section	".note.GNU-stack","",@progbits
	.addrsig
	.addrsig_sym _Z51ncclDevFunc_ReduceScatter_RING_LL_Prod_f8e5m2_0_0_1v
	.addrsig_sym _Z51ncclDevFunc_ReduceScatter_RING_LL_Prod_f8e5m2_0_0_2v
	.addrsig_sym _Z51ncclDevFunc_ReduceScatter_RING_LL_Prod_f8e5m2_0_0_4v
	.addrsig_sym ncclShmem
	.addrsig_sym __hip_cuid_412c3899cc96558a
	.amdgpu_metadata
---
amdhsa.kernels:  []
amdhsa.target:   amdgcn-amd-amdhsa--gfx90a
amdhsa.version:
  - 1
  - 2
...

	.end_amdgpu_metadata
